;; amdgpu-corpus repo=pytorch/pytorch kind=compiled arch=gfx1250 opt=O3
	.amdgcn_target "amdgcn-amd-amdhsa--gfx1250"
	.amdhsa_code_object_version 6
	.section	.text._ZN2at6native12_GLOBAL__N_125multi_tensor_apply_kernelINS1_32FusedOptimizerTensorListMetadataILi3EEENS1_23FusedAdagradMathFunctorIdEEJPKfddddbS8_S8_EEEvT_T0_DpT1_,"axG",@progbits,_ZN2at6native12_GLOBAL__N_125multi_tensor_apply_kernelINS1_32FusedOptimizerTensorListMetadataILi3EEENS1_23FusedAdagradMathFunctorIdEEJPKfddddbS8_S8_EEEvT_T0_DpT1_,comdat
	.globl	_ZN2at6native12_GLOBAL__N_125multi_tensor_apply_kernelINS1_32FusedOptimizerTensorListMetadataILi3EEENS1_23FusedAdagradMathFunctorIdEEJPKfddddbS8_S8_EEEvT_T0_DpT1_ ; -- Begin function _ZN2at6native12_GLOBAL__N_125multi_tensor_apply_kernelINS1_32FusedOptimizerTensorListMetadataILi3EEENS1_23FusedAdagradMathFunctorIdEEJPKfddddbS8_S8_EEEvT_T0_DpT1_
	.p2align	8
	.type	_ZN2at6native12_GLOBAL__N_125multi_tensor_apply_kernelINS1_32FusedOptimizerTensorListMetadataILi3EEENS1_23FusedAdagradMathFunctorIdEEJPKfddddbS8_S8_EEEvT_T0_DpT1_,@function
_ZN2at6native12_GLOBAL__N_125multi_tensor_apply_kernelINS1_32FusedOptimizerTensorListMetadataILi3EEENS1_23FusedAdagradMathFunctorIdEEJPKfddddbS8_S8_EEEvT_T0_DpT1_: ; @_ZN2at6native12_GLOBAL__N_125multi_tensor_apply_kernelINS1_32FusedOptimizerTensorListMetadataILi3EEENS1_23FusedAdagradMathFunctorIdEEJPKfddddbS8_S8_EEEvT_T0_DpT1_
; %bb.0:
	s_bfe_u32 s2, ttmp6, 0x4000c
	s_and_b32 s3, ttmp6, 15
	s_add_co_i32 s2, s2, 1
	s_getreg_b32 s4, hwreg(HW_REG_IB_STS2, 6, 4)
	s_mul_i32 s2, ttmp9, s2
	s_mov_b32 s21, 0
	s_add_co_i32 s3, s3, s2
	s_cmp_eq_u32 s4, 0
	s_load_b256 s[4:11], s[0:1], 0xdd0
	s_cselect_b32 s20, ttmp9, s3
	s_delay_alu instid0(SALU_CYCLE_1)
	v_mov_b32_e32 v1, s20
	global_load_u8 v1, v1, s[0:1] offset:1920
	s_wait_kmcnt 0x0
	v_mov_b64_e32 v[2:3], s[6:7]
	s_cmp_eq_u64 s[4:5], 0
	s_wait_loadcnt 0x0
	v_readfirstlane_b32 s3, v1
	s_cbranch_scc1 .LBB0_2
; %bb.1:
	s_load_b32 s2, s[4:5], 0x0
	s_wait_kmcnt 0x0
	v_cvt_f64_f32_e32 v[2:3], s2
.LBB0_2:
	s_load_b128 s[12:15], s[0:1], 0xe00
	s_wait_kmcnt 0x0
	s_cmp_eq_u64 s[14:15], 0
	s_cselect_b32 s2, -1, 0
	s_delay_alu instid0(SALU_CYCLE_1)
	s_and_b32 vcc_lo, exec_lo, s2
	s_cbranch_vccnz .LBB0_4
; %bb.3:
	s_load_b32 s2, s[14:15], 0x0
	s_wait_kmcnt 0x0
	s_cmp_neq_f32 s2, 1.0
	s_cselect_b32 s2, -1, 0
.LBB0_4:
	s_delay_alu instid0(SALU_CYCLE_1)
	s_and_not1_b32 vcc_lo, exec_lo, s2
	s_cbranch_vccnz .LBB0_74
; %bb.5:
	s_load_b96 s[16:18], s[0:1], 0xdf0
	s_mul_u64 s[6:7], s[20:21], 3
	s_wait_kmcnt 0x0
	s_bitcmp1_b32 s18, 0
	s_cselect_b32 s2, -1, 0
	s_and_b32 s3, s3, 0xff
	s_load_b64 s[4:5], s[0:1], s3 offset:0x600 scale_offset
	s_wait_kmcnt 0x0
	s_load_b32 s4, s[4:5], 0x0
	s_wait_kmcnt 0x0
	s_add_f32 s4, s4, -1.0
	s_delay_alu instid0(SALU_CYCLE_3) | instskip(SKIP_1) | instid1(SALU_CYCLE_1)
	v_cvt_f64_f32_e32 v[4:5], s4
	s_add_nc_u64 s[4:5], s[0:1], s[20:21]
	s_add_nc_u64 s[4:5], s[4:5], s[6:7]
	s_clause 0x4
	s_load_b32 s6, s[4:5], 0x8c0
	s_load_b64 s[14:15], s[0:1], s3 offset:0x180 scale_offset
	s_load_b64 s[18:19], s[0:1], s3 offset:0x300 scale_offset
	;; [unrolled: 1-line block ×4, first 2 shown]
	s_wait_kmcnt 0x0
	s_ashr_i32 s7, s6, 31
	s_delay_alu instid0(SALU_CYCLE_1) | instskip(NEXT) | instid1(VALU_DEP_1)
	s_lshl_b64 s[4:5], s[6:7], 16
	v_fma_f64 v[4:5], s[8:9], v[4:5], 1.0
	s_lshl_b64 s[8:9], s[6:7], 19
	s_delay_alu instid0(SALU_CYCLE_1)
	s_add_nc_u64 s[24:25], s[14:15], s[8:9]
	s_add_nc_u64 s[26:27], s[18:19], s[8:9]
	;; [unrolled: 1-line block ×3, first 2 shown]
	s_or_b32 s3, s26, s24
	s_and_b64 s[6:7], s[28:29], 31
	s_and_b32 s3, s3, 31
	s_delay_alu instid0(SALU_CYCLE_1) | instskip(SKIP_4) | instid1(SALU_CYCLE_1)
	s_cmp_lg_u32 s3, 0
	s_cselect_b32 s3, -1, 0
	s_and_b64 s[30:31], s[22:23], 3
	s_sub_nc_u64 s[22:23], s[22:23], s[4:5]
	s_or_b64 s[6:7], s[6:7], s[30:31]
	s_cmp_lg_u64 s[6:7], 0
	s_cselect_b32 s6, -1, 0
	s_delay_alu instid0(SALU_CYCLE_1) | instskip(NEXT) | instid1(VALU_DEP_1)
	s_or_b32 s3, s3, s6
	v_div_scale_f64 v[6:7], null, v[4:5], v[4:5], v[2:3]
	v_div_scale_f64 v[12:13], vcc_lo, v[2:3], v[4:5], v[2:3]
	s_delay_alu instid0(VALU_DEP_2) | instskip(SKIP_1) | instid1(TRANS32_DEP_1)
	v_rcp_f64_e32 v[8:9], v[6:7]
	v_nop
	v_fma_f64 v[10:11], -v[6:7], v[8:9], 1.0
	s_delay_alu instid0(VALU_DEP_1) | instskip(NEXT) | instid1(VALU_DEP_1)
	v_fmac_f64_e32 v[8:9], v[8:9], v[10:11]
	v_fma_f64 v[10:11], -v[6:7], v[8:9], 1.0
	s_delay_alu instid0(VALU_DEP_1) | instskip(NEXT) | instid1(VALU_DEP_1)
	v_fmac_f64_e32 v[8:9], v[8:9], v[10:11]
	v_mul_f64_e32 v[10:11], v[12:13], v[8:9]
	s_delay_alu instid0(VALU_DEP_1) | instskip(NEXT) | instid1(VALU_DEP_1)
	v_fma_f64 v[6:7], -v[6:7], v[10:11], v[12:13]
	v_div_fmas_f64 v[6:7], v[6:7], v[8:9], v[10:11]
	s_and_not1_b32 vcc_lo, exec_lo, s3
	s_mov_b32 s3, -1
	s_delay_alu instid0(VALU_DEP_1)
	v_div_fixup_f64 v[26:27], v[6:7], v[4:5], v[2:3]
	s_cbranch_vccz .LBB0_20
; %bb.6:
	v_min_i64 v[28:29], 0x10000, s[22:23]
	v_dual_mov_b32 v31, 0 :: v_dual_lshlrev_b32 v30, 2, v0
	s_mov_b32 s7, exec_lo
	s_delay_alu instid0(VALU_DEP_1)
	v_cmpx_lt_i64_e64 v[30:31], v[28:29]
	s_cbranch_execz .LBB0_19
; %bb.7:
	v_cmp_neq_f64_e64 s3, s[10:11], 0
	s_load_b32 s4, s[0:1], 0xe1c
	v_dual_mov_b32 v1, v31 :: v_dual_lshlrev_b32 v30, 5, v0
	s_cmp_lg_u64 s[12:13], 0
	s_mov_b32 s31, 0
	s_cselect_b32 s33, -1, 0
	s_delay_alu instid0(VALU_DEP_1) | instskip(SKIP_4) | instid1(SALU_CYCLE_1)
	v_mov_b64_e32 v[32:33], v[0:1]
	s_mov_b32 s35, s31
	s_mov_b32 s36, s31
	s_wait_kmcnt 0x0
	s_and_b32 s30, s4, 0xffff
	s_lshl_b32 s34, s30, 5
	s_branch .LBB0_9
.LBB0_8:                                ;   in Loop: Header=BB0_9 Depth=1
	v_add_nc_u64_e32 v[32:33], s[30:31], v[32:33]
	s_add_nc_u64 s[26:27], s[26:27], s[34:35]
	s_add_nc_u64 s[28:29], s[28:29], s[34:35]
	;; [unrolled: 1-line block ×3, first 2 shown]
	s_clause 0x1
	global_store_b128 v[34:35], v[6:9], off
	global_store_b128 v[34:35], v[2:5], off offset:16
	s_wait_xcnt 0x2
	v_lshlrev_b64_e32 v[10:11], 2, v[32:33]
	s_delay_alu instid0(VALU_DEP_1)
	v_cmp_ge_i64_e32 vcc_lo, v[10:11], v[28:29]
	s_or_b32 s36, vcc_lo, s36
	s_wait_xcnt 0x0
	s_and_not1_b32 exec_lo, exec_lo, s36
	s_cbranch_execz .LBB0_19
.LBB0_9:                                ; =>This Inner Loop Header: Depth=1
	v_add_nc_u64_e32 v[38:39], s[28:29], v[30:31]
	v_add_nc_u64_e32 v[36:37], s[24:25], v[30:31]
	v_add_nc_u64_e32 v[34:35], s[26:27], v[30:31]
	s_and_not1_b32 vcc_lo, exec_lo, s33
	s_clause 0x1
	global_load_b128 v[18:21], v[38:39], off offset:16
	global_load_b128 v[22:25], v[38:39], off
	s_clause 0x1
	global_load_b128 v[10:13], v[36:37], off offset:16
	global_load_b128 v[14:17], v[36:37], off
	;; [unrolled: 3-line block ×3, first 2 shown]
	s_cbranch_vccnz .LBB0_11
; %bb.10:                               ;   in Loop: Header=BB0_9 Depth=1
	global_load_b32 v1, v31, s[12:13]
	s_wait_loadcnt 0x0
	v_cvt_f64_f32_e32 v[40:41], v1
	s_delay_alu instid0(VALU_DEP_1) | instskip(NEXT) | instid1(VALU_DEP_1)
	v_div_scale_f64 v[42:43], null, v[40:41], v[40:41], v[14:15]
	v_rcp_f64_e32 v[44:45], v[42:43]
	v_nop
	s_delay_alu instid0(TRANS32_DEP_1) | instskip(NEXT) | instid1(VALU_DEP_1)
	v_fma_f64 v[46:47], -v[42:43], v[44:45], 1.0
	v_fmac_f64_e32 v[44:45], v[44:45], v[46:47]
	s_delay_alu instid0(VALU_DEP_1) | instskip(NEXT) | instid1(VALU_DEP_1)
	v_fma_f64 v[46:47], -v[42:43], v[44:45], 1.0
	v_fmac_f64_e32 v[44:45], v[44:45], v[46:47]
	v_div_scale_f64 v[46:47], vcc_lo, v[14:15], v[40:41], v[14:15]
	s_delay_alu instid0(VALU_DEP_1) | instskip(NEXT) | instid1(VALU_DEP_1)
	v_mul_f64_e32 v[48:49], v[46:47], v[44:45]
	v_fma_f64 v[42:43], -v[42:43], v[48:49], v[46:47]
	s_delay_alu instid0(VALU_DEP_1) | instskip(NEXT) | instid1(VALU_DEP_1)
	v_div_fmas_f64 v[42:43], v[42:43], v[44:45], v[48:49]
	v_div_fixup_f64 v[14:15], v[42:43], v[40:41], v[14:15]
.LBB0_11:                               ;   in Loop: Header=BB0_9 Depth=1
	s_and_not1_b32 vcc_lo, exec_lo, s33
	s_cbranch_vccnz .LBB0_13
; %bb.12:                               ;   in Loop: Header=BB0_9 Depth=1
	global_load_b32 v1, v31, s[12:13]
	s_wait_loadcnt 0x0
	v_cvt_f64_f32_e32 v[40:41], v1
	s_delay_alu instid0(VALU_DEP_1) | instskip(NEXT) | instid1(VALU_DEP_1)
	v_div_scale_f64 v[42:43], null, v[40:41], v[40:41], v[16:17]
	v_rcp_f64_e32 v[44:45], v[42:43]
	v_nop
	s_delay_alu instid0(TRANS32_DEP_1) | instskip(NEXT) | instid1(VALU_DEP_1)
	v_fma_f64 v[46:47], -v[42:43], v[44:45], 1.0
	v_fmac_f64_e32 v[44:45], v[44:45], v[46:47]
	s_delay_alu instid0(VALU_DEP_1) | instskip(NEXT) | instid1(VALU_DEP_1)
	v_fma_f64 v[46:47], -v[42:43], v[44:45], 1.0
	v_fmac_f64_e32 v[44:45], v[44:45], v[46:47]
	v_div_scale_f64 v[46:47], vcc_lo, v[16:17], v[40:41], v[16:17]
	s_delay_alu instid0(VALU_DEP_1) | instskip(NEXT) | instid1(VALU_DEP_1)
	v_mul_f64_e32 v[48:49], v[46:47], v[44:45]
	v_fma_f64 v[42:43], -v[42:43], v[48:49], v[46:47]
	s_delay_alu instid0(VALU_DEP_1) | instskip(NEXT) | instid1(VALU_DEP_1)
	v_div_fmas_f64 v[42:43], v[42:43], v[44:45], v[48:49]
	v_div_fixup_f64 v[16:17], v[42:43], v[40:41], v[16:17]
.LBB0_13:                               ;   in Loop: Header=BB0_9 Depth=1
	s_and_not1_b32 vcc_lo, exec_lo, s33
	;; [unrolled: 24-line block ×3, first 2 shown]
	s_cbranch_vccnz .LBB0_17
; %bb.16:                               ;   in Loop: Header=BB0_9 Depth=1
	global_load_b32 v1, v31, s[12:13]
	s_wait_loadcnt 0x0
	v_cvt_f64_f32_e32 v[40:41], v1
	s_delay_alu instid0(VALU_DEP_1) | instskip(NEXT) | instid1(VALU_DEP_1)
	v_div_scale_f64 v[42:43], null, v[40:41], v[40:41], v[12:13]
	v_rcp_f64_e32 v[44:45], v[42:43]
	v_nop
	s_delay_alu instid0(TRANS32_DEP_1) | instskip(NEXT) | instid1(VALU_DEP_1)
	v_fma_f64 v[46:47], -v[42:43], v[44:45], 1.0
	v_fmac_f64_e32 v[44:45], v[44:45], v[46:47]
	s_delay_alu instid0(VALU_DEP_1) | instskip(NEXT) | instid1(VALU_DEP_1)
	v_fma_f64 v[46:47], -v[42:43], v[44:45], 1.0
	v_fmac_f64_e32 v[44:45], v[44:45], v[46:47]
	v_div_scale_f64 v[46:47], vcc_lo, v[12:13], v[40:41], v[12:13]
	s_delay_alu instid0(VALU_DEP_1) | instskip(NEXT) | instid1(VALU_DEP_1)
	v_mul_f64_e32 v[48:49], v[46:47], v[44:45]
	v_fma_f64 v[42:43], -v[42:43], v[48:49], v[46:47]
	s_delay_alu instid0(VALU_DEP_1) | instskip(NEXT) | instid1(VALU_DEP_1)
	v_div_fmas_f64 v[42:43], v[42:43], v[44:45], v[48:49]
	v_div_fixup_f64 v[12:13], v[42:43], v[40:41], v[12:13]
.LBB0_17:                               ;   in Loop: Header=BB0_9 Depth=1
	s_wait_loadcnt 0x3
	s_delay_alu instid0(VALU_DEP_1) | instskip(NEXT) | instid1(VALU_DEP_1)
	v_xor_b32_e32 v1, 0x80000000, v11
	v_dual_mov_b32 v40, v10 :: v_dual_cndmask_b32 v41, v11, v1, s2
	s_wait_loadcnt 0x2
	s_delay_alu instid0(VALU_DEP_3) | instskip(NEXT) | instid1(VALU_DEP_4)
	v_xor_b32_e32 v1, 0x80000000, v17
	v_mov_b32_e32 v44, v16
	s_delay_alu instid0(VALU_DEP_3) | instskip(SKIP_1) | instid1(VALU_DEP_4)
	v_mov_b64_e32 v[42:43], v[40:41]
	v_xor_b32_e32 v40, 0x80000000, v15
	v_dual_cndmask_b32 v45, v17, v1, s2 :: v_dual_mov_b32 v46, v14
	v_xor_b32_e32 v1, 0x80000000, v13
	s_delay_alu instid0(VALU_DEP_3) | instskip(NEXT) | instid1(VALU_DEP_3)
	v_dual_mov_b32 v50, v12 :: v_dual_cndmask_b32 v47, v15, v40, s2
	v_mov_b64_e32 v[48:49], v[44:45]
	v_fmac_f64_e32 v[42:43], s[10:11], v[18:19]
	s_delay_alu instid0(VALU_DEP_4) | instskip(NEXT) | instid1(VALU_DEP_4)
	v_cndmask_b32_e64 v51, v13, v1, s2
	v_mov_b64_e32 v[52:53], v[46:47]
	s_delay_alu instid0(VALU_DEP_4) | instskip(NEXT) | instid1(VALU_DEP_3)
	v_fmac_f64_e32 v[48:49], s[10:11], v[24:25]
	v_mov_b64_e32 v[54:55], v[50:51]
	s_delay_alu instid0(VALU_DEP_3) | instskip(NEXT) | instid1(VALU_DEP_2)
	v_fmac_f64_e32 v[52:53], s[10:11], v[22:23]
	v_fmac_f64_e32 v[54:55], s[10:11], v[20:21]
	v_dual_cndmask_b32 v41, v41, v43, s3 :: v_dual_cndmask_b32 v40, v10, v42, s3
	v_dual_cndmask_b32 v43, v45, v49, s3 :: v_dual_cndmask_b32 v42, v16, v48, s3
	s_wait_loadcnt 0x1
	s_delay_alu instid0(VALU_DEP_2)
	v_fmac_f64_e32 v[2:3], v[40:41], v[40:41]
	v_mul_f64_e32 v[40:41], v[26:27], v[40:41]
	v_dual_cndmask_b32 v45, v47, v53, s3 :: v_dual_cndmask_b32 v44, v14, v52, s3
	s_wait_loadcnt 0x0
	v_fmac_f64_e32 v[8:9], v[42:43], v[42:43]
	v_mul_f64_e32 v[42:43], v[26:27], v[42:43]
	v_dual_cndmask_b32 v47, v51, v55, s3 :: v_dual_cndmask_b32 v46, v12, v54, s3
	v_fmac_f64_e32 v[6:7], v[44:45], v[44:45]
	v_mul_f64_e32 v[44:45], v[26:27], v[44:45]
	s_delay_alu instid0(VALU_DEP_3)
	v_fmac_f64_e32 v[4:5], v[46:47], v[46:47]
	v_mul_f64_e32 v[46:47], v[26:27], v[46:47]
	v_cmp_gt_f64_e32 vcc_lo, 0x10000000, v[2:3]
	v_cmp_gt_f64_e64 s4, 0x10000000, v[8:9]
	v_cmp_gt_f64_e64 s5, 0x10000000, v[6:7]
	;; [unrolled: 1-line block ×3, first 2 shown]
	v_cndmask_b32_e64 v1, 0, 0x100, vcc_lo
	s_delay_alu instid0(VALU_DEP_1) | instskip(SKIP_2) | instid1(VALU_DEP_2)
	v_ldexp_f64 v[48:49], v[2:3], v1
	v_cndmask_b32_e64 v1, 0, 0x100, s4
	v_cndmask_b32_e64 v52, 0, 0x100, s5
	v_ldexp_f64 v[50:51], v[8:9], v1
	v_cndmask_b32_e64 v1, 0, 0x100, s6
	s_delay_alu instid0(VALU_DEP_3) | instskip(NEXT) | instid1(VALU_DEP_2)
	v_ldexp_f64 v[52:53], v[6:7], v52
	v_ldexp_f64 v[56:57], v[4:5], v1
	v_cndmask_b32_e64 v1, 0, 0xffffff80, vcc_lo
	v_rsq_f64_e32 v[54:55], v[48:49]
	v_cmp_class_f64_e64 vcc_lo, v[48:49], 0x260
	v_rsq_f64_e32 v[58:59], v[50:51]
	s_delay_alu instid0(VALU_DEP_4) | instskip(NEXT) | instid1(VALU_DEP_3)
	v_rsq_f64_e32 v[60:61], v[52:53]
	v_rsq_f64_e32 v[62:63], v[56:57]
	v_mul_f64_e32 v[64:65], v[48:49], v[54:55]
	v_mul_f64_e32 v[54:55], 0.5, v[54:55]
	s_delay_alu instid0(TRANS32_DEP_2) | instskip(SKIP_1) | instid1(TRANS32_DEP_1)
	v_mul_f64_e32 v[68:69], v[52:53], v[60:61]
	v_mul_f64_e32 v[60:61], 0.5, v[60:61]
	v_mul_f64_e32 v[72:73], v[56:57], v[62:63]
	v_mul_f64_e32 v[62:63], 0.5, v[62:63]
	v_fma_f64 v[70:71], -v[54:55], v[64:65], 0.5
	s_delay_alu instid0(VALU_DEP_4) | instskip(NEXT) | instid1(VALU_DEP_3)
	v_fma_f64 v[76:77], -v[60:61], v[68:69], 0.5
	v_fma_f64 v[78:79], -v[62:63], v[72:73], 0.5
	s_delay_alu instid0(VALU_DEP_3) | instskip(SKIP_1) | instid1(VALU_DEP_4)
	v_fmac_f64_e32 v[64:65], v[64:65], v[70:71]
	v_fmac_f64_e32 v[54:55], v[54:55], v[70:71]
	;; [unrolled: 1-line block ×6, first 2 shown]
	v_fma_f64 v[70:71], -v[64:65], v[64:65], v[48:49]
	v_fma_f64 v[76:77], -v[68:69], v[68:69], v[52:53]
	s_delay_alu instid0(VALU_DEP_2) | instskip(SKIP_1) | instid1(VALU_DEP_3)
	v_fmac_f64_e32 v[64:65], v[70:71], v[54:55]
	v_fma_f64 v[70:71], -v[72:73], v[72:73], v[56:57]
	v_fmac_f64_e32 v[68:69], v[76:77], v[60:61]
	s_delay_alu instid0(VALU_DEP_2) | instskip(NEXT) | instid1(VALU_DEP_2)
	v_fmac_f64_e32 v[72:73], v[70:71], v[62:63]
	v_fma_f64 v[76:77], -v[68:69], v[68:69], v[52:53]
	s_delay_alu instid0(VALU_DEP_1) | instskip(SKIP_2) | instid1(VALU_DEP_2)
	v_fmac_f64_e32 v[68:69], v[76:77], v[60:61]
	v_cndmask_b32_e64 v60, 0, 0xffffff80, s5
	v_cmp_class_f64_e64 s5, v[52:53], 0x260
	v_ldexp_f64 v[60:61], v[68:69], v60
	s_delay_alu instid0(TRANS32_DEP_3) | instskip(NEXT) | instid1(VALU_DEP_2)
	v_mul_f64_e32 v[66:67], v[50:51], v[58:59]
	v_dual_mul_f64 v[58:59], 0.5, v[58:59] :: v_dual_cndmask_b32 v52, v60, v52, s5
	s_delay_alu instid0(VALU_DEP_3) | instskip(NEXT) | instid1(VALU_DEP_2)
	v_cndmask_b32_e64 v53, v61, v53, s5
	v_fma_f64 v[74:75], -v[58:59], v[66:67], 0.5
	s_delay_alu instid0(VALU_DEP_2) | instskip(NEXT) | instid1(VALU_DEP_2)
	v_add_f64_e32 v[52:53], s[16:17], v[52:53]
	v_fmac_f64_e32 v[66:67], v[66:67], v[74:75]
	v_fmac_f64_e32 v[58:59], v[58:59], v[74:75]
	s_delay_alu instid0(VALU_DEP_3) | instskip(NEXT) | instid1(VALU_DEP_3)
	v_div_scale_f64 v[60:61], null, v[52:53], v[52:53], v[44:45]
	v_fma_f64 v[74:75], -v[66:67], v[66:67], v[50:51]
	s_delay_alu instid0(VALU_DEP_2) | instskip(NEXT) | instid1(VALU_DEP_1)
	v_rcp_f64_e32 v[68:69], v[60:61]
	v_fmac_f64_e32 v[66:67], v[74:75], v[58:59]
	v_fma_f64 v[74:75], -v[64:65], v[64:65], v[48:49]
	s_delay_alu instid0(TRANS32_DEP_1) | instskip(NEXT) | instid1(VALU_DEP_3)
	v_fma_f64 v[76:77], -v[60:61], v[68:69], 1.0
	v_fma_f64 v[70:71], -v[66:67], v[66:67], v[50:51]
	s_delay_alu instid0(VALU_DEP_3) | instskip(SKIP_1) | instid1(VALU_DEP_4)
	v_fmac_f64_e32 v[64:65], v[74:75], v[54:55]
	v_fma_f64 v[54:55], -v[72:73], v[72:73], v[56:57]
	v_fmac_f64_e32 v[68:69], v[68:69], v[76:77]
	s_delay_alu instid0(VALU_DEP_4) | instskip(NEXT) | instid1(VALU_DEP_4)
	v_fmac_f64_e32 v[66:67], v[70:71], v[58:59]
	v_ldexp_f64 v[58:59], v[64:65], v1
	s_delay_alu instid0(VALU_DEP_4) | instskip(SKIP_3) | instid1(VALU_DEP_3)
	v_fmac_f64_e32 v[72:73], v[54:55], v[62:63]
	v_cndmask_b32_e64 v1, 0, 0xffffff80, s4
	v_cmp_class_f64_e64 s4, v[50:51], 0x260
	v_fma_f64 v[76:77], -v[60:61], v[68:69], 1.0
	v_ldexp_f64 v[54:55], v[66:67], v1
	v_cndmask_b32_e64 v1, 0, 0xffffff80, s6
	v_dual_cndmask_b32 v49, v59, v49 :: v_dual_cndmask_b32 v48, v58, v48
	v_cmp_class_f64_e64 vcc_lo, v[56:57], 0x260
	s_delay_alu instid0(VALU_DEP_3) | instskip(NEXT) | instid1(VALU_DEP_3)
	v_ldexp_f64 v[58:59], v[72:73], v1
	v_add_f64_e32 v[48:49], s[16:17], v[48:49]
	v_fmac_f64_e32 v[68:69], v[68:69], v[76:77]
	v_dual_cndmask_b32 v51, v55, v51, s4 :: v_dual_cndmask_b32 v50, v54, v50, s4
	s_delay_alu instid0(VALU_DEP_4) | instskip(NEXT) | instid1(VALU_DEP_2)
	v_dual_cndmask_b32 v55, v59, v57 :: v_dual_cndmask_b32 v54, v58, v56
	v_add_f64_e32 v[50:51], s[16:17], v[50:51]
	v_div_scale_f64 v[56:57], null, v[48:49], v[48:49], v[40:41]
	v_div_scale_f64 v[78:79], vcc_lo, v[40:41], v[48:49], v[40:41]
	s_delay_alu instid0(VALU_DEP_4) | instskip(NEXT) | instid1(VALU_DEP_4)
	v_add_f64_e32 v[54:55], s[16:17], v[54:55]
	v_div_scale_f64 v[58:59], null, v[50:51], v[50:51], v[42:43]
	s_delay_alu instid0(VALU_DEP_4) | instskip(SKIP_1) | instid1(VALU_DEP_3)
	v_rcp_f64_e32 v[62:63], v[56:57]
	v_div_scale_f64 v[80:81], s4, v[42:43], v[50:51], v[42:43]
	v_div_scale_f64 v[64:65], null, v[54:55], v[54:55], v[46:47]
	v_div_scale_f64 v[76:77], s6, v[46:47], v[54:55], v[46:47]
	s_delay_alu instid0(VALU_DEP_4) | instskip(NEXT) | instid1(VALU_DEP_2)
	v_rcp_f64_e32 v[66:67], v[58:59]
	v_rcp_f64_e32 v[70:71], v[64:65]
	s_delay_alu instid0(TRANS32_DEP_3) | instskip(NEXT) | instid1(TRANS32_DEP_2)
	v_fma_f64 v[72:73], -v[56:57], v[62:63], 1.0
	v_fma_f64 v[74:75], -v[58:59], v[66:67], 1.0
	s_delay_alu instid0(VALU_DEP_2) | instskip(NEXT) | instid1(TRANS32_DEP_1)
	v_fmac_f64_e32 v[62:63], v[62:63], v[72:73]
	v_fma_f64 v[72:73], -v[64:65], v[70:71], 1.0
	s_delay_alu instid0(VALU_DEP_3) | instskip(NEXT) | instid1(VALU_DEP_3)
	v_fmac_f64_e32 v[66:67], v[66:67], v[74:75]
	v_fma_f64 v[74:75], -v[56:57], v[62:63], 1.0
	s_delay_alu instid0(VALU_DEP_3) | instskip(NEXT) | instid1(VALU_DEP_3)
	;; [unrolled: 3-line block ×3, first 2 shown]
	v_fmac_f64_e32 v[62:63], v[62:63], v[74:75]
	v_fma_f64 v[74:75], -v[64:65], v[70:71], 1.0
	s_delay_alu instid0(VALU_DEP_3) | instskip(SKIP_1) | instid1(VALU_DEP_4)
	v_fmac_f64_e32 v[66:67], v[66:67], v[72:73]
	v_div_scale_f64 v[72:73], s5, v[44:45], v[52:53], v[44:45]
	v_mul_f64_e32 v[82:83], v[78:79], v[62:63]
	s_delay_alu instid0(VALU_DEP_4) | instskip(NEXT) | instid1(VALU_DEP_4)
	v_fmac_f64_e32 v[70:71], v[70:71], v[74:75]
	v_mul_f64_e32 v[74:75], v[80:81], v[66:67]
	s_delay_alu instid0(VALU_DEP_4) | instskip(NEXT) | instid1(VALU_DEP_4)
	v_mul_f64_e32 v[84:85], v[72:73], v[68:69]
	v_fma_f64 v[56:57], -v[56:57], v[82:83], v[78:79]
	s_delay_alu instid0(VALU_DEP_4) | instskip(NEXT) | instid1(VALU_DEP_4)
	v_mul_f64_e32 v[78:79], v[76:77], v[70:71]
	v_fma_f64 v[58:59], -v[58:59], v[74:75], v[80:81]
	s_delay_alu instid0(VALU_DEP_4) | instskip(NEXT) | instid1(VALU_DEP_4)
	v_fma_f64 v[60:61], -v[60:61], v[84:85], v[72:73]
	v_div_fmas_f64 v[56:57], v[56:57], v[62:63], v[82:83]
	s_mov_b32 vcc_lo, s4
	s_delay_alu instid0(VALU_DEP_4) | instskip(NEXT) | instid1(VALU_DEP_4)
	v_fma_f64 v[64:65], -v[64:65], v[78:79], v[76:77]
	v_div_fmas_f64 v[58:59], v[58:59], v[66:67], v[74:75]
	s_mov_b32 vcc_lo, s5
	s_delay_alu instid0(VALU_DEP_4) | instskip(SKIP_1) | instid1(VALU_DEP_4)
	v_div_fmas_f64 v[60:61], v[60:61], v[68:69], v[84:85]
	s_mov_b32 vcc_lo, s6
	v_div_fixup_f64 v[40:41], v[56:57], v[48:49], v[40:41]
	s_delay_alu instid0(VALU_DEP_4) | instskip(SKIP_1) | instid1(VALU_DEP_4)
	v_div_fmas_f64 v[62:63], v[64:65], v[70:71], v[78:79]
	s_and_not1_b32 vcc_lo, exec_lo, s33
	v_div_fixup_f64 v[42:43], v[58:59], v[50:51], v[42:43]
	s_delay_alu instid0(VALU_DEP_4) | instskip(NEXT) | instid1(VALU_DEP_4)
	v_div_fixup_f64 v[44:45], v[60:61], v[52:53], v[44:45]
	v_add_f64_e64 v[18:19], v[18:19], -v[40:41]
	s_delay_alu instid0(VALU_DEP_4) | instskip(NEXT) | instid1(VALU_DEP_4)
	v_div_fixup_f64 v[46:47], v[62:63], v[54:55], v[46:47]
	v_add_f64_e64 v[24:25], v[24:25], -v[42:43]
	s_delay_alu instid0(VALU_DEP_4) | instskip(NEXT) | instid1(VALU_DEP_3)
	v_add_f64_e64 v[22:23], v[22:23], -v[44:45]
	v_add_f64_e64 v[20:21], v[20:21], -v[46:47]
	s_clause 0x1
	global_store_b128 v[38:39], v[22:25], off
	global_store_b128 v[38:39], v[18:21], off offset:16
	s_cbranch_vccnz .LBB0_8
; %bb.18:                               ;   in Loop: Header=BB0_9 Depth=1
	s_clause 0x1
	global_store_b128 v[36:37], v[14:17], off
	global_store_b128 v[36:37], v[10:13], off offset:16
	s_branch .LBB0_8
.LBB0_19:
	s_or_b32 exec_lo, exec_lo, s7
	s_mov_b32 s3, 0
.LBB0_20:
	s_delay_alu instid0(SALU_CYCLE_1)
	s_and_not1_b32 vcc_lo, exec_lo, s3
	s_cbranch_vccnz .LBB0_74
; %bb.21:
	v_cmp_lt_i64_e64 s3, s[22:23], 1
	s_and_b32 vcc_lo, exec_lo, s3
	s_cbranch_vccnz .LBB0_74
; %bb.22:
	s_load_b32 s1, s[0:1], 0xe1c
	v_min_i64 v[2:3], 0x10000, s[22:23]
	v_min_u64 v[4:5], 0x10000, s[22:23]
	s_wait_xcnt 0x0
	v_cmp_neq_f64_e64 s0, s[10:11], 0
	v_dual_mov_b32 v1, 0 :: v_dual_lshlrev_b32 v14, 3, v0
	s_mov_b32 s5, 0
	s_delay_alu instid0(SALU_CYCLE_1) | instskip(NEXT) | instid1(VALU_DEP_1)
	s_mov_b32 s27, s5
	v_dual_mov_b32 v15, v1 :: v_dual_mov_b32 v37, v1
	s_mov_b32 s7, s5
	s_mov_b32 s25, s5
	s_delay_alu instid0(VALU_DEP_1) | instskip(SKIP_4) | instid1(SALU_CYCLE_1)
	v_add_nc_u64_e32 v[6:7], s[20:21], v[14:15]
	v_add_nc_u64_e32 v[8:9], s[14:15], v[14:15]
	v_add_nc_u64_e32 v[10:11], s[18:19], v[14:15]
	s_wait_kmcnt 0x0
	s_and_b32 s4, s1, 0xffff
	s_lshl_b32 s6, s4, 1
	v_add_nc_u64_e32 v[12:13], s[4:5], v[0:1]
	v_mad_nc_u64_u32 v[22:23], s4, 24, v[14:15]
	s_cmp_lg_u64 s[12:13], 0
	s_mul_i32 s24, s4, 3
	s_cselect_b32 s22, -1, 0
	s_lshl_b32 s26, s4, 4
	v_add_nc_u64_e32 v[16:17], s[6:7], v[0:1]
	v_add_nc_u64_e32 v[30:31], s[26:27], v[14:15]
	v_lshlrev_b32_e32 v36, 3, v12
	v_add_nc_u64_e32 v[14:15], s[24:25], v[0:1]
	s_mov_b64 s[6:7], 0
	v_add_nc_u64_e32 v[18:19], s[20:21], v[22:23]
	v_add_nc_u64_e32 v[20:21], s[14:15], v[22:23]
	v_add_nc_u64_e32 v[22:23], s[18:19], v[22:23]
	v_add_nc_u64_e32 v[24:25], s[20:21], v[30:31]
	v_add_nc_u64_e32 v[28:29], s[14:15], v[30:31]
	v_add_nc_u64_e32 v[30:31], s[18:19], v[30:31]
	v_add_nc_u64_e32 v[32:33], s[20:21], v[36:37]
	v_add_nc_u64_e32 v[34:35], s[14:15], v[36:37]
	v_add_nc_u64_e32 v[36:37], s[18:19], v[36:37]
	s_lshl_b32 s14, s4, 2
	s_mov_b32 s15, s5
	s_lshl_b32 s18, s4, 5
	s_mov_b32 s19, s5
	s_branch .LBB0_24
.LBB0_23:                               ;   in Loop: Header=BB0_24 Depth=1
	s_wait_xcnt 0x0
	s_or_b32 exec_lo, exec_lo, s1
	s_add_nc_u64 s[6:7], s[6:7], s[14:15]
	v_add_nc_u64_e32 v[6:7], s[18:19], v[6:7]
	v_cmp_ge_i64_e32 vcc_lo, s[6:7], v[2:3]
	v_add_nc_u64_e32 v[8:9], s[18:19], v[8:9]
	v_add_nc_u64_e32 v[10:11], s[18:19], v[10:11]
	;; [unrolled: 1-line block ×11, first 2 shown]
	s_cbranch_vccnz .LBB0_74
.LBB0_24:                               ; =>This Inner Loop Header: Depth=1
	v_add_nc_u64_e32 v[40:41], s[6:7], v[0:1]
	v_mov_b64_e32 v[38:39], 0
	v_mov_b64_e32 v[42:43], 0
	v_mov_b64_e32 v[60:61], 0
	s_delay_alu instid0(VALU_DEP_4)
	v_cmp_lt_u64_e64 s1, v[40:41], v[4:5]
	s_and_saveexec_b32 s3, s1
	s_cbranch_execz .LBB0_26
; %bb.25:                               ;   in Loop: Header=BB0_24 Depth=1
	v_add_nc_u64_e32 v[40:41], s[8:9], v[6:7]
	v_add_nc_u64_e32 v[44:45], s[8:9], v[8:9]
	global_load_b64 v[60:61], v[40:41], off
	global_load_b64 v[42:43], v[44:45], off
.LBB0_26:                               ;   in Loop: Header=BB0_24 Depth=1
	s_wait_xcnt 0x0
	s_or_b32 exec_lo, exec_lo, s3
	s_and_saveexec_b32 s3, s1
	s_cbranch_execz .LBB0_28
; %bb.27:                               ;   in Loop: Header=BB0_24 Depth=1
	v_add_nc_u64_e32 v[38:39], s[8:9], v[10:11]
	global_load_b64 v[38:39], v[38:39], off
.LBB0_28:                               ;   in Loop: Header=BB0_24 Depth=1
	s_wait_xcnt 0x0
	s_or_b32 exec_lo, exec_lo, s3
	v_add_nc_u64_e32 v[44:45], s[6:7], v[12:13]
	v_mov_b64_e32 v[40:41], 0
	v_mov_b64_e32 v[46:47], 0
	v_mov_b64_e32 v[58:59], 0
	s_delay_alu instid0(VALU_DEP_4)
	v_cmp_lt_u64_e64 s3, v[44:45], v[4:5]
	s_and_saveexec_b32 s4, s3
	s_cbranch_execz .LBB0_30
; %bb.29:                               ;   in Loop: Header=BB0_24 Depth=1
	v_add_nc_u64_e32 v[44:45], s[8:9], v[32:33]
	v_add_nc_u64_e32 v[48:49], s[8:9], v[34:35]
	global_load_b64 v[58:59], v[44:45], off
	global_load_b64 v[46:47], v[48:49], off
.LBB0_30:                               ;   in Loop: Header=BB0_24 Depth=1
	s_wait_xcnt 0x0
	s_or_b32 exec_lo, exec_lo, s4
	s_and_saveexec_b32 s4, s3
	s_cbranch_execz .LBB0_32
; %bb.31:                               ;   in Loop: Header=BB0_24 Depth=1
	v_add_nc_u64_e32 v[40:41], s[8:9], v[36:37]
	global_load_b64 v[40:41], v[40:41], off
.LBB0_32:                               ;   in Loop: Header=BB0_24 Depth=1
	s_wait_xcnt 0x0
	s_or_b32 exec_lo, exec_lo, s4
	;; [unrolled: 24-line block ×3, first 2 shown]
	v_add_nc_u64_e32 v[54:55], s[6:7], v[14:15]
	v_mov_b64_e32 v[48:49], 0
	v_mov_b64_e32 v[52:53], 0
	s_delay_alu instid0(VALU_DEP_3)
	v_cmp_lt_u64_e64 s5, v[54:55], v[4:5]
	v_mov_b64_e32 v[54:55], 0
	s_and_saveexec_b32 s20, s5
	s_cbranch_execnz .LBB0_65
; %bb.37:                               ;   in Loop: Header=BB0_24 Depth=1
	s_or_b32 exec_lo, exec_lo, s20
	s_and_saveexec_b32 s20, s5
	s_cbranch_execnz .LBB0_66
.LBB0_38:                               ;   in Loop: Header=BB0_24 Depth=1
	s_or_b32 exec_lo, exec_lo, s20
	s_delay_alu instid0(SALU_CYCLE_1)
	s_and_not1_b32 vcc_lo, exec_lo, s22
	s_cbranch_vccnz .LBB0_40
.LBB0_39:                               ;   in Loop: Header=BB0_24 Depth=1
	global_load_b32 v62, v1, s[12:13]
	s_wait_loadcnt 0x0
	v_cvt_f64_f32_e32 v[62:63], v62
	s_delay_alu instid0(VALU_DEP_1) | instskip(NEXT) | instid1(VALU_DEP_1)
	v_div_scale_f64 v[64:65], null, v[62:63], v[62:63], v[42:43]
	v_rcp_f64_e32 v[66:67], v[64:65]
	v_nop
	s_delay_alu instid0(TRANS32_DEP_1) | instskip(NEXT) | instid1(VALU_DEP_1)
	v_fma_f64 v[68:69], -v[64:65], v[66:67], 1.0
	v_fmac_f64_e32 v[66:67], v[66:67], v[68:69]
	s_delay_alu instid0(VALU_DEP_1) | instskip(NEXT) | instid1(VALU_DEP_1)
	v_fma_f64 v[68:69], -v[64:65], v[66:67], 1.0
	v_fmac_f64_e32 v[66:67], v[66:67], v[68:69]
	v_div_scale_f64 v[68:69], vcc_lo, v[42:43], v[62:63], v[42:43]
	s_delay_alu instid0(VALU_DEP_1) | instskip(NEXT) | instid1(VALU_DEP_1)
	v_mul_f64_e32 v[70:71], v[68:69], v[66:67]
	v_fma_f64 v[64:65], -v[64:65], v[70:71], v[68:69]
	s_delay_alu instid0(VALU_DEP_1) | instskip(NEXT) | instid1(VALU_DEP_1)
	v_div_fmas_f64 v[64:65], v[64:65], v[66:67], v[70:71]
	v_div_fixup_f64 v[42:43], v[64:65], v[62:63], v[42:43]
.LBB0_40:                               ;   in Loop: Header=BB0_24 Depth=1
	s_and_not1_b32 vcc_lo, exec_lo, s22
	s_cbranch_vccnz .LBB0_42
; %bb.41:                               ;   in Loop: Header=BB0_24 Depth=1
	global_load_b32 v62, v1, s[12:13]
	s_wait_loadcnt 0x0
	v_cvt_f64_f32_e32 v[62:63], v62
	s_delay_alu instid0(VALU_DEP_1) | instskip(NEXT) | instid1(VALU_DEP_1)
	v_div_scale_f64 v[64:65], null, v[62:63], v[62:63], v[46:47]
	v_rcp_f64_e32 v[66:67], v[64:65]
	v_nop
	s_delay_alu instid0(TRANS32_DEP_1) | instskip(NEXT) | instid1(VALU_DEP_1)
	v_fma_f64 v[68:69], -v[64:65], v[66:67], 1.0
	v_fmac_f64_e32 v[66:67], v[66:67], v[68:69]
	s_delay_alu instid0(VALU_DEP_1) | instskip(NEXT) | instid1(VALU_DEP_1)
	v_fma_f64 v[68:69], -v[64:65], v[66:67], 1.0
	v_fmac_f64_e32 v[66:67], v[66:67], v[68:69]
	v_div_scale_f64 v[68:69], vcc_lo, v[46:47], v[62:63], v[46:47]
	s_delay_alu instid0(VALU_DEP_1) | instskip(NEXT) | instid1(VALU_DEP_1)
	v_mul_f64_e32 v[70:71], v[68:69], v[66:67]
	v_fma_f64 v[64:65], -v[64:65], v[70:71], v[68:69]
	s_delay_alu instid0(VALU_DEP_1) | instskip(NEXT) | instid1(VALU_DEP_1)
	v_div_fmas_f64 v[64:65], v[64:65], v[66:67], v[70:71]
	v_div_fixup_f64 v[46:47], v[64:65], v[62:63], v[46:47]
.LBB0_42:                               ;   in Loop: Header=BB0_24 Depth=1
	s_and_not1_b32 vcc_lo, exec_lo, s22
	s_cbranch_vccnz .LBB0_44
; %bb.43:                               ;   in Loop: Header=BB0_24 Depth=1
	global_load_b32 v62, v1, s[12:13]
	s_wait_loadcnt 0x0
	v_cvt_f64_f32_e32 v[62:63], v62
	s_delay_alu instid0(VALU_DEP_1) | instskip(NEXT) | instid1(VALU_DEP_1)
	v_div_scale_f64 v[64:65], null, v[62:63], v[62:63], v[50:51]
	v_rcp_f64_e32 v[66:67], v[64:65]
	v_nop
	s_delay_alu instid0(TRANS32_DEP_1) | instskip(NEXT) | instid1(VALU_DEP_1)
	v_fma_f64 v[68:69], -v[64:65], v[66:67], 1.0
	v_fmac_f64_e32 v[66:67], v[66:67], v[68:69]
	s_delay_alu instid0(VALU_DEP_1) | instskip(NEXT) | instid1(VALU_DEP_1)
	v_fma_f64 v[68:69], -v[64:65], v[66:67], 1.0
	v_fmac_f64_e32 v[66:67], v[66:67], v[68:69]
	v_div_scale_f64 v[68:69], vcc_lo, v[50:51], v[62:63], v[50:51]
	s_delay_alu instid0(VALU_DEP_1) | instskip(NEXT) | instid1(VALU_DEP_1)
	v_mul_f64_e32 v[70:71], v[68:69], v[66:67]
	v_fma_f64 v[64:65], -v[64:65], v[70:71], v[68:69]
	s_delay_alu instid0(VALU_DEP_1) | instskip(NEXT) | instid1(VALU_DEP_1)
	v_div_fmas_f64 v[64:65], v[64:65], v[66:67], v[70:71]
	v_div_fixup_f64 v[50:51], v[64:65], v[62:63], v[50:51]
.LBB0_44:                               ;   in Loop: Header=BB0_24 Depth=1
	;; [unrolled: 24-line block ×3, first 2 shown]
	s_wait_loadcnt 0x0
	s_delay_alu instid0(VALU_DEP_1) | instskip(NEXT) | instid1(VALU_DEP_1)
	v_xor_b32_e32 v63, 0x80000000, v43
	v_dual_mov_b32 v62, v42 :: v_dual_cndmask_b32 v63, v43, v63, s2
	s_delay_alu instid0(VALU_DEP_1) | instskip(NEXT) | instid1(VALU_DEP_1)
	v_mov_b64_e32 v[64:65], v[62:63]
	v_fmac_f64_e32 v[64:65], s[10:11], v[60:61]
	s_delay_alu instid0(VALU_DEP_1) | instskip(NEXT) | instid1(VALU_DEP_1)
	v_dual_cndmask_b32 v63, v63, v65, s0 :: v_dual_cndmask_b32 v62, v42, v64, s0
	v_fmac_f64_e32 v[38:39], v[62:63], v[62:63]
	s_wait_xcnt 0x0
	s_and_saveexec_b32 s20, s1
	s_cbranch_execz .LBB0_48
; %bb.47:                               ;   in Loop: Header=BB0_24 Depth=1
	s_delay_alu instid0(VALU_DEP_1) | instskip(SKIP_2) | instid1(VALU_DEP_1)
	v_cmp_gt_f64_e32 vcc_lo, 0x10000000, v[38:39]
	v_mul_f64_e32 v[62:63], v[26:27], v[62:63]
	v_cndmask_b32_e64 v64, 0, 0x100, vcc_lo
	v_ldexp_f64 v[64:65], v[38:39], v64
	s_delay_alu instid0(VALU_DEP_1) | instskip(SKIP_1) | instid1(TRANS32_DEP_1)
	v_rsq_f64_e32 v[66:67], v[64:65]
	v_nop
	v_mul_f64_e32 v[68:69], v[64:65], v[66:67]
	v_mul_f64_e32 v[66:67], 0.5, v[66:67]
	s_delay_alu instid0(VALU_DEP_1) | instskip(NEXT) | instid1(VALU_DEP_1)
	v_fma_f64 v[70:71], -v[66:67], v[68:69], 0.5
	v_fmac_f64_e32 v[68:69], v[68:69], v[70:71]
	v_fmac_f64_e32 v[66:67], v[66:67], v[70:71]
	s_delay_alu instid0(VALU_DEP_2) | instskip(NEXT) | instid1(VALU_DEP_1)
	v_fma_f64 v[70:71], -v[68:69], v[68:69], v[64:65]
	v_fmac_f64_e32 v[68:69], v[70:71], v[66:67]
	s_delay_alu instid0(VALU_DEP_1) | instskip(NEXT) | instid1(VALU_DEP_1)
	v_fma_f64 v[70:71], -v[68:69], v[68:69], v[64:65]
	v_fmac_f64_e32 v[68:69], v[70:71], v[66:67]
	v_cndmask_b32_e64 v66, 0, 0xffffff80, vcc_lo
	v_cmp_class_f64_e64 vcc_lo, v[64:65], 0x260
	s_delay_alu instid0(VALU_DEP_2) | instskip(NEXT) | instid1(VALU_DEP_1)
	v_ldexp_f64 v[66:67], v[68:69], v66
	v_dual_cndmask_b32 v65, v67, v65 :: v_dual_cndmask_b32 v64, v66, v64
	s_delay_alu instid0(VALU_DEP_1) | instskip(NEXT) | instid1(VALU_DEP_1)
	v_add_f64_e32 v[64:65], s[16:17], v[64:65]
	v_div_scale_f64 v[66:67], null, v[64:65], v[64:65], v[62:63]
	s_delay_alu instid0(VALU_DEP_1) | instskip(SKIP_1) | instid1(TRANS32_DEP_1)
	v_rcp_f64_e32 v[68:69], v[66:67]
	v_nop
	v_fma_f64 v[70:71], -v[66:67], v[68:69], 1.0
	s_delay_alu instid0(VALU_DEP_1) | instskip(NEXT) | instid1(VALU_DEP_1)
	v_fmac_f64_e32 v[68:69], v[68:69], v[70:71]
	v_fma_f64 v[70:71], -v[66:67], v[68:69], 1.0
	s_delay_alu instid0(VALU_DEP_1) | instskip(SKIP_1) | instid1(VALU_DEP_1)
	v_fmac_f64_e32 v[68:69], v[68:69], v[70:71]
	v_div_scale_f64 v[70:71], vcc_lo, v[62:63], v[64:65], v[62:63]
	v_mul_f64_e32 v[72:73], v[70:71], v[68:69]
	s_delay_alu instid0(VALU_DEP_1) | instskip(NEXT) | instid1(VALU_DEP_1)
	v_fma_f64 v[66:67], -v[66:67], v[72:73], v[70:71]
	v_div_fmas_f64 v[66:67], v[66:67], v[68:69], v[72:73]
	s_delay_alu instid0(VALU_DEP_1) | instskip(NEXT) | instid1(VALU_DEP_1)
	v_div_fixup_f64 v[62:63], v[66:67], v[64:65], v[62:63]
	v_add_f64_e64 v[60:61], v[60:61], -v[62:63]
	v_add_nc_u64_e32 v[62:63], s[8:9], v[6:7]
	global_store_b64 v[62:63], v[60:61], off
.LBB0_48:                               ;   in Loop: Header=BB0_24 Depth=1
	s_wait_xcnt 0x0
	s_or_b32 exec_lo, exec_lo, s20
	v_xor_b32_e32 v61, 0x80000000, v47
	s_delay_alu instid0(VALU_DEP_1) | instskip(NEXT) | instid1(VALU_DEP_1)
	v_dual_mov_b32 v60, v46 :: v_dual_cndmask_b32 v61, v47, v61, s2
	v_mov_b64_e32 v[62:63], v[60:61]
	s_delay_alu instid0(VALU_DEP_1) | instskip(NEXT) | instid1(VALU_DEP_1)
	v_fmac_f64_e32 v[62:63], s[10:11], v[58:59]
	v_dual_cndmask_b32 v61, v61, v63, s0 :: v_dual_cndmask_b32 v60, v46, v62, s0
	s_delay_alu instid0(VALU_DEP_1)
	v_fmac_f64_e32 v[40:41], v[60:61], v[60:61]
	s_and_saveexec_b32 s20, s3
	s_cbranch_execz .LBB0_50
; %bb.49:                               ;   in Loop: Header=BB0_24 Depth=1
	s_delay_alu instid0(VALU_DEP_1) | instskip(SKIP_2) | instid1(VALU_DEP_1)
	v_cmp_gt_f64_e32 vcc_lo, 0x10000000, v[40:41]
	v_mul_f64_e32 v[60:61], v[26:27], v[60:61]
	v_cndmask_b32_e64 v62, 0, 0x100, vcc_lo
	v_ldexp_f64 v[62:63], v[40:41], v62
	s_delay_alu instid0(VALU_DEP_1) | instskip(SKIP_1) | instid1(TRANS32_DEP_1)
	v_rsq_f64_e32 v[64:65], v[62:63]
	v_nop
	v_mul_f64_e32 v[66:67], v[62:63], v[64:65]
	v_mul_f64_e32 v[64:65], 0.5, v[64:65]
	s_delay_alu instid0(VALU_DEP_1) | instskip(NEXT) | instid1(VALU_DEP_1)
	v_fma_f64 v[68:69], -v[64:65], v[66:67], 0.5
	v_fmac_f64_e32 v[66:67], v[66:67], v[68:69]
	v_fmac_f64_e32 v[64:65], v[64:65], v[68:69]
	s_delay_alu instid0(VALU_DEP_2) | instskip(NEXT) | instid1(VALU_DEP_1)
	v_fma_f64 v[68:69], -v[66:67], v[66:67], v[62:63]
	v_fmac_f64_e32 v[66:67], v[68:69], v[64:65]
	s_delay_alu instid0(VALU_DEP_1) | instskip(NEXT) | instid1(VALU_DEP_1)
	v_fma_f64 v[68:69], -v[66:67], v[66:67], v[62:63]
	v_fmac_f64_e32 v[66:67], v[68:69], v[64:65]
	v_cndmask_b32_e64 v64, 0, 0xffffff80, vcc_lo
	v_cmp_class_f64_e64 vcc_lo, v[62:63], 0x260
	s_delay_alu instid0(VALU_DEP_2) | instskip(NEXT) | instid1(VALU_DEP_1)
	v_ldexp_f64 v[64:65], v[66:67], v64
	v_dual_cndmask_b32 v63, v65, v63 :: v_dual_cndmask_b32 v62, v64, v62
	s_delay_alu instid0(VALU_DEP_1) | instskip(NEXT) | instid1(VALU_DEP_1)
	v_add_f64_e32 v[62:63], s[16:17], v[62:63]
	v_div_scale_f64 v[64:65], null, v[62:63], v[62:63], v[60:61]
	s_delay_alu instid0(VALU_DEP_1) | instskip(SKIP_1) | instid1(TRANS32_DEP_1)
	v_rcp_f64_e32 v[66:67], v[64:65]
	v_nop
	v_fma_f64 v[68:69], -v[64:65], v[66:67], 1.0
	s_delay_alu instid0(VALU_DEP_1) | instskip(NEXT) | instid1(VALU_DEP_1)
	v_fmac_f64_e32 v[66:67], v[66:67], v[68:69]
	v_fma_f64 v[68:69], -v[64:65], v[66:67], 1.0
	s_delay_alu instid0(VALU_DEP_1) | instskip(SKIP_1) | instid1(VALU_DEP_1)
	v_fmac_f64_e32 v[66:67], v[66:67], v[68:69]
	v_div_scale_f64 v[68:69], vcc_lo, v[60:61], v[62:63], v[60:61]
	v_mul_f64_e32 v[70:71], v[68:69], v[66:67]
	s_delay_alu instid0(VALU_DEP_1) | instskip(NEXT) | instid1(VALU_DEP_1)
	v_fma_f64 v[64:65], -v[64:65], v[70:71], v[68:69]
	v_div_fmas_f64 v[64:65], v[64:65], v[66:67], v[70:71]
	s_delay_alu instid0(VALU_DEP_1) | instskip(NEXT) | instid1(VALU_DEP_1)
	v_div_fixup_f64 v[60:61], v[64:65], v[62:63], v[60:61]
	v_add_f64_e64 v[58:59], v[58:59], -v[60:61]
	v_add_nc_u64_e32 v[60:61], s[8:9], v[32:33]
	global_store_b64 v[60:61], v[58:59], off
.LBB0_50:                               ;   in Loop: Header=BB0_24 Depth=1
	s_wait_xcnt 0x0
	s_or_b32 exec_lo, exec_lo, s20
	v_xor_b32_e32 v59, 0x80000000, v51
	s_delay_alu instid0(VALU_DEP_1) | instskip(NEXT) | instid1(VALU_DEP_1)
	v_dual_mov_b32 v58, v50 :: v_dual_cndmask_b32 v59, v51, v59, s2
	v_mov_b64_e32 v[60:61], v[58:59]
	s_delay_alu instid0(VALU_DEP_1) | instskip(NEXT) | instid1(VALU_DEP_1)
	v_fmac_f64_e32 v[60:61], s[10:11], v[56:57]
	v_dual_cndmask_b32 v59, v59, v61, s0 :: v_dual_cndmask_b32 v58, v50, v60, s0
	s_delay_alu instid0(VALU_DEP_1)
	v_fmac_f64_e32 v[44:45], v[58:59], v[58:59]
	s_and_saveexec_b32 s20, s4
	s_cbranch_execz .LBB0_52
; %bb.51:                               ;   in Loop: Header=BB0_24 Depth=1
	s_delay_alu instid0(VALU_DEP_1) | instskip(SKIP_2) | instid1(VALU_DEP_1)
	v_cmp_gt_f64_e32 vcc_lo, 0x10000000, v[44:45]
	v_mul_f64_e32 v[58:59], v[26:27], v[58:59]
	v_cndmask_b32_e64 v60, 0, 0x100, vcc_lo
	v_ldexp_f64 v[60:61], v[44:45], v60
	s_delay_alu instid0(VALU_DEP_1) | instskip(SKIP_1) | instid1(TRANS32_DEP_1)
	v_rsq_f64_e32 v[62:63], v[60:61]
	v_nop
	v_mul_f64_e32 v[64:65], v[60:61], v[62:63]
	v_mul_f64_e32 v[62:63], 0.5, v[62:63]
	s_delay_alu instid0(VALU_DEP_1) | instskip(NEXT) | instid1(VALU_DEP_1)
	v_fma_f64 v[66:67], -v[62:63], v[64:65], 0.5
	v_fmac_f64_e32 v[64:65], v[64:65], v[66:67]
	v_fmac_f64_e32 v[62:63], v[62:63], v[66:67]
	s_delay_alu instid0(VALU_DEP_2) | instskip(NEXT) | instid1(VALU_DEP_1)
	v_fma_f64 v[66:67], -v[64:65], v[64:65], v[60:61]
	v_fmac_f64_e32 v[64:65], v[66:67], v[62:63]
	s_delay_alu instid0(VALU_DEP_1) | instskip(NEXT) | instid1(VALU_DEP_1)
	v_fma_f64 v[66:67], -v[64:65], v[64:65], v[60:61]
	v_fmac_f64_e32 v[64:65], v[66:67], v[62:63]
	v_cndmask_b32_e64 v62, 0, 0xffffff80, vcc_lo
	v_cmp_class_f64_e64 vcc_lo, v[60:61], 0x260
	s_delay_alu instid0(VALU_DEP_2) | instskip(NEXT) | instid1(VALU_DEP_1)
	v_ldexp_f64 v[62:63], v[64:65], v62
	v_dual_cndmask_b32 v61, v63, v61 :: v_dual_cndmask_b32 v60, v62, v60
	s_delay_alu instid0(VALU_DEP_1) | instskip(NEXT) | instid1(VALU_DEP_1)
	v_add_f64_e32 v[60:61], s[16:17], v[60:61]
	v_div_scale_f64 v[62:63], null, v[60:61], v[60:61], v[58:59]
	s_delay_alu instid0(VALU_DEP_1) | instskip(SKIP_1) | instid1(TRANS32_DEP_1)
	v_rcp_f64_e32 v[64:65], v[62:63]
	v_nop
	v_fma_f64 v[66:67], -v[62:63], v[64:65], 1.0
	s_delay_alu instid0(VALU_DEP_1) | instskip(NEXT) | instid1(VALU_DEP_1)
	v_fmac_f64_e32 v[64:65], v[64:65], v[66:67]
	v_fma_f64 v[66:67], -v[62:63], v[64:65], 1.0
	s_delay_alu instid0(VALU_DEP_1) | instskip(SKIP_1) | instid1(VALU_DEP_1)
	v_fmac_f64_e32 v[64:65], v[64:65], v[66:67]
	v_div_scale_f64 v[66:67], vcc_lo, v[58:59], v[60:61], v[58:59]
	v_mul_f64_e32 v[68:69], v[66:67], v[64:65]
	s_delay_alu instid0(VALU_DEP_1) | instskip(NEXT) | instid1(VALU_DEP_1)
	v_fma_f64 v[62:63], -v[62:63], v[68:69], v[66:67]
	v_div_fmas_f64 v[62:63], v[62:63], v[64:65], v[68:69]
	s_delay_alu instid0(VALU_DEP_1) | instskip(NEXT) | instid1(VALU_DEP_1)
	v_div_fixup_f64 v[58:59], v[62:63], v[60:61], v[58:59]
	v_add_f64_e64 v[56:57], v[56:57], -v[58:59]
	v_add_nc_u64_e32 v[58:59], s[8:9], v[24:25]
	global_store_b64 v[58:59], v[56:57], off
.LBB0_52:                               ;   in Loop: Header=BB0_24 Depth=1
	s_wait_xcnt 0x0
	s_or_b32 exec_lo, exec_lo, s20
	v_xor_b32_e32 v57, 0x80000000, v53
	s_delay_alu instid0(VALU_DEP_1) | instskip(NEXT) | instid1(VALU_DEP_1)
	v_dual_mov_b32 v56, v52 :: v_dual_cndmask_b32 v57, v53, v57, s2
	v_mov_b64_e32 v[58:59], v[56:57]
	s_delay_alu instid0(VALU_DEP_1) | instskip(NEXT) | instid1(VALU_DEP_1)
	v_fmac_f64_e32 v[58:59], s[10:11], v[54:55]
	v_dual_cndmask_b32 v57, v57, v59, s0 :: v_dual_cndmask_b32 v56, v52, v58, s0
	s_delay_alu instid0(VALU_DEP_1)
	v_fmac_f64_e32 v[48:49], v[56:57], v[56:57]
	s_and_saveexec_b32 s20, s5
	s_cbranch_execz .LBB0_54
; %bb.53:                               ;   in Loop: Header=BB0_24 Depth=1
	s_delay_alu instid0(VALU_DEP_1) | instskip(SKIP_2) | instid1(VALU_DEP_1)
	v_cmp_gt_f64_e32 vcc_lo, 0x10000000, v[48:49]
	v_mul_f64_e32 v[56:57], v[26:27], v[56:57]
	v_cndmask_b32_e64 v58, 0, 0x100, vcc_lo
	v_ldexp_f64 v[58:59], v[48:49], v58
	s_delay_alu instid0(VALU_DEP_1) | instskip(SKIP_1) | instid1(TRANS32_DEP_1)
	v_rsq_f64_e32 v[60:61], v[58:59]
	v_nop
	v_mul_f64_e32 v[62:63], v[58:59], v[60:61]
	v_mul_f64_e32 v[60:61], 0.5, v[60:61]
	s_delay_alu instid0(VALU_DEP_1) | instskip(NEXT) | instid1(VALU_DEP_1)
	v_fma_f64 v[64:65], -v[60:61], v[62:63], 0.5
	v_fmac_f64_e32 v[62:63], v[62:63], v[64:65]
	v_fmac_f64_e32 v[60:61], v[60:61], v[64:65]
	s_delay_alu instid0(VALU_DEP_2) | instskip(NEXT) | instid1(VALU_DEP_1)
	v_fma_f64 v[64:65], -v[62:63], v[62:63], v[58:59]
	v_fmac_f64_e32 v[62:63], v[64:65], v[60:61]
	s_delay_alu instid0(VALU_DEP_1) | instskip(NEXT) | instid1(VALU_DEP_1)
	v_fma_f64 v[64:65], -v[62:63], v[62:63], v[58:59]
	v_fmac_f64_e32 v[62:63], v[64:65], v[60:61]
	v_cndmask_b32_e64 v60, 0, 0xffffff80, vcc_lo
	v_cmp_class_f64_e64 vcc_lo, v[58:59], 0x260
	s_delay_alu instid0(VALU_DEP_2) | instskip(NEXT) | instid1(VALU_DEP_1)
	v_ldexp_f64 v[60:61], v[62:63], v60
	v_dual_cndmask_b32 v59, v61, v59 :: v_dual_cndmask_b32 v58, v60, v58
	s_delay_alu instid0(VALU_DEP_1) | instskip(NEXT) | instid1(VALU_DEP_1)
	v_add_f64_e32 v[58:59], s[16:17], v[58:59]
	v_div_scale_f64 v[60:61], null, v[58:59], v[58:59], v[56:57]
	s_delay_alu instid0(VALU_DEP_1) | instskip(SKIP_1) | instid1(TRANS32_DEP_1)
	v_rcp_f64_e32 v[62:63], v[60:61]
	v_nop
	v_fma_f64 v[64:65], -v[60:61], v[62:63], 1.0
	s_delay_alu instid0(VALU_DEP_1) | instskip(NEXT) | instid1(VALU_DEP_1)
	v_fmac_f64_e32 v[62:63], v[62:63], v[64:65]
	v_fma_f64 v[64:65], -v[60:61], v[62:63], 1.0
	s_delay_alu instid0(VALU_DEP_1) | instskip(SKIP_1) | instid1(VALU_DEP_1)
	v_fmac_f64_e32 v[62:63], v[62:63], v[64:65]
	v_div_scale_f64 v[64:65], vcc_lo, v[56:57], v[58:59], v[56:57]
	v_mul_f64_e32 v[66:67], v[64:65], v[62:63]
	s_delay_alu instid0(VALU_DEP_1) | instskip(NEXT) | instid1(VALU_DEP_1)
	v_fma_f64 v[60:61], -v[60:61], v[66:67], v[64:65]
	v_div_fmas_f64 v[60:61], v[60:61], v[62:63], v[66:67]
	s_delay_alu instid0(VALU_DEP_1) | instskip(NEXT) | instid1(VALU_DEP_1)
	v_div_fixup_f64 v[56:57], v[60:61], v[58:59], v[56:57]
	v_add_f64_e64 v[54:55], v[54:55], -v[56:57]
	v_add_nc_u64_e32 v[56:57], s[8:9], v[18:19]
	global_store_b64 v[56:57], v[54:55], off
.LBB0_54:                               ;   in Loop: Header=BB0_24 Depth=1
	s_wait_xcnt 0x0
	s_or_b32 exec_lo, exec_lo, s20
	s_delay_alu instid0(SALU_CYCLE_1)
	s_and_not1_b32 vcc_lo, exec_lo, s22
	s_cbranch_vccnz .LBB0_61
; %bb.55:                               ;   in Loop: Header=BB0_24 Depth=1
	s_and_saveexec_b32 s20, s1
	s_cbranch_execnz .LBB0_71
; %bb.56:                               ;   in Loop: Header=BB0_24 Depth=1
	s_or_b32 exec_lo, exec_lo, s20
	s_and_saveexec_b32 s20, s3
	s_cbranch_execnz .LBB0_72
.LBB0_57:                               ;   in Loop: Header=BB0_24 Depth=1
	s_or_b32 exec_lo, exec_lo, s20
	s_and_saveexec_b32 s20, s4
	s_cbranch_execnz .LBB0_73
.LBB0_58:                               ;   in Loop: Header=BB0_24 Depth=1
	s_or_b32 exec_lo, exec_lo, s20
	s_and_saveexec_b32 s20, s5
	s_cbranch_execz .LBB0_60
.LBB0_59:                               ;   in Loop: Header=BB0_24 Depth=1
	v_add_nc_u64_e32 v[42:43], s[8:9], v[20:21]
	global_store_b64 v[42:43], v[52:53], off
.LBB0_60:                               ;   in Loop: Header=BB0_24 Depth=1
	s_wait_xcnt 0x0
	s_or_b32 exec_lo, exec_lo, s20
.LBB0_61:                               ;   in Loop: Header=BB0_24 Depth=1
	s_and_saveexec_b32 s20, s1
	s_cbranch_execnz .LBB0_67
; %bb.62:                               ;   in Loop: Header=BB0_24 Depth=1
	s_or_b32 exec_lo, exec_lo, s20
	s_and_saveexec_b32 s1, s3
	s_cbranch_execnz .LBB0_68
.LBB0_63:                               ;   in Loop: Header=BB0_24 Depth=1
	s_or_b32 exec_lo, exec_lo, s1
	s_and_saveexec_b32 s1, s4
	s_cbranch_execnz .LBB0_69
.LBB0_64:                               ;   in Loop: Header=BB0_24 Depth=1
	s_or_b32 exec_lo, exec_lo, s1
	s_and_saveexec_b32 s1, s5
	s_cbranch_execz .LBB0_23
	s_branch .LBB0_70
.LBB0_65:                               ;   in Loop: Header=BB0_24 Depth=1
	v_add_nc_u64_e32 v[62:63], s[8:9], v[18:19]
	v_add_nc_u64_e32 v[64:65], s[8:9], v[20:21]
	global_load_b64 v[54:55], v[62:63], off
	global_load_b64 v[52:53], v[64:65], off
	s_wait_xcnt 0x0
	s_or_b32 exec_lo, exec_lo, s20
	s_and_saveexec_b32 s20, s5
	s_cbranch_execz .LBB0_38
.LBB0_66:                               ;   in Loop: Header=BB0_24 Depth=1
	v_add_nc_u64_e32 v[48:49], s[8:9], v[22:23]
	global_load_b64 v[48:49], v[48:49], off
	s_wait_xcnt 0x0
	s_or_b32 exec_lo, exec_lo, s20
	s_delay_alu instid0(SALU_CYCLE_1)
	s_and_not1_b32 vcc_lo, exec_lo, s22
	s_cbranch_vccz .LBB0_39
	s_branch .LBB0_40
.LBB0_67:                               ;   in Loop: Header=BB0_24 Depth=1
	v_add_nc_u64_e32 v[42:43], s[8:9], v[10:11]
	global_store_b64 v[42:43], v[38:39], off
	s_wait_xcnt 0x0
	s_or_b32 exec_lo, exec_lo, s20
	s_and_saveexec_b32 s1, s3
	s_cbranch_execz .LBB0_63
.LBB0_68:                               ;   in Loop: Header=BB0_24 Depth=1
	v_add_nc_u64_e32 v[38:39], s[8:9], v[36:37]
	global_store_b64 v[38:39], v[40:41], off
	s_wait_xcnt 0x0
	s_or_b32 exec_lo, exec_lo, s1
	s_and_saveexec_b32 s1, s4
	s_cbranch_execz .LBB0_64
.LBB0_69:                               ;   in Loop: Header=BB0_24 Depth=1
	v_add_nc_u64_e32 v[38:39], s[8:9], v[30:31]
	global_store_b64 v[38:39], v[44:45], off
	s_wait_xcnt 0x0
	s_or_b32 exec_lo, exec_lo, s1
	s_and_saveexec_b32 s1, s5
	s_cbranch_execz .LBB0_23
.LBB0_70:                               ;   in Loop: Header=BB0_24 Depth=1
	v_add_nc_u64_e32 v[38:39], s[8:9], v[22:23]
	global_store_b64 v[38:39], v[48:49], off
	s_branch .LBB0_23
.LBB0_71:                               ;   in Loop: Header=BB0_24 Depth=1
	v_add_nc_u64_e32 v[54:55], s[8:9], v[8:9]
	global_store_b64 v[54:55], v[42:43], off
	s_wait_xcnt 0x0
	s_or_b32 exec_lo, exec_lo, s20
	s_and_saveexec_b32 s20, s3
	s_cbranch_execz .LBB0_57
.LBB0_72:                               ;   in Loop: Header=BB0_24 Depth=1
	v_add_nc_u64_e32 v[42:43], s[8:9], v[34:35]
	global_store_b64 v[42:43], v[46:47], off
	s_wait_xcnt 0x0
	s_or_b32 exec_lo, exec_lo, s20
	s_and_saveexec_b32 s20, s4
	s_cbranch_execz .LBB0_58
.LBB0_73:                               ;   in Loop: Header=BB0_24 Depth=1
	v_add_nc_u64_e32 v[42:43], s[8:9], v[28:29]
	global_store_b64 v[42:43], v[50:51], off
	s_wait_xcnt 0x0
	s_or_b32 exec_lo, exec_lo, s20
	s_and_saveexec_b32 s20, s5
	s_cbranch_execnz .LBB0_59
	s_branch .LBB0_60
.LBB0_74:
	s_sendmsg sendmsg(MSG_DEALLOC_VGPRS)
	s_endpgm
	.section	.rodata,"a",@progbits
	.p2align	6, 0x0
	.amdhsa_kernel _ZN2at6native12_GLOBAL__N_125multi_tensor_apply_kernelINS1_32FusedOptimizerTensorListMetadataILi3EEENS1_23FusedAdagradMathFunctorIdEEJPKfddddbS8_S8_EEEvT_T0_DpT1_
		.amdhsa_group_segment_fixed_size 0
		.amdhsa_private_segment_fixed_size 0
		.amdhsa_kernarg_size 3856
		.amdhsa_user_sgpr_count 2
		.amdhsa_user_sgpr_dispatch_ptr 0
		.amdhsa_user_sgpr_queue_ptr 0
		.amdhsa_user_sgpr_kernarg_segment_ptr 1
		.amdhsa_user_sgpr_dispatch_id 0
		.amdhsa_user_sgpr_kernarg_preload_length 0
		.amdhsa_user_sgpr_kernarg_preload_offset 0
		.amdhsa_user_sgpr_private_segment_size 0
		.amdhsa_wavefront_size32 1
		.amdhsa_uses_dynamic_stack 0
		.amdhsa_enable_private_segment 0
		.amdhsa_system_sgpr_workgroup_id_x 1
		.amdhsa_system_sgpr_workgroup_id_y 0
		.amdhsa_system_sgpr_workgroup_id_z 0
		.amdhsa_system_sgpr_workgroup_info 0
		.amdhsa_system_vgpr_workitem_id 0
		.amdhsa_next_free_vgpr 86
		.amdhsa_next_free_sgpr 37
		.amdhsa_named_barrier_count 0
		.amdhsa_reserve_vcc 1
		.amdhsa_float_round_mode_32 0
		.amdhsa_float_round_mode_16_64 0
		.amdhsa_float_denorm_mode_32 3
		.amdhsa_float_denorm_mode_16_64 3
		.amdhsa_fp16_overflow 0
		.amdhsa_memory_ordered 1
		.amdhsa_forward_progress 1
		.amdhsa_inst_pref_size 45
		.amdhsa_round_robin_scheduling 0
		.amdhsa_exception_fp_ieee_invalid_op 0
		.amdhsa_exception_fp_denorm_src 0
		.amdhsa_exception_fp_ieee_div_zero 0
		.amdhsa_exception_fp_ieee_overflow 0
		.amdhsa_exception_fp_ieee_underflow 0
		.amdhsa_exception_fp_ieee_inexact 0
		.amdhsa_exception_int_div_zero 0
	.end_amdhsa_kernel
	.section	.text._ZN2at6native12_GLOBAL__N_125multi_tensor_apply_kernelINS1_32FusedOptimizerTensorListMetadataILi3EEENS1_23FusedAdagradMathFunctorIdEEJPKfddddbS8_S8_EEEvT_T0_DpT1_,"axG",@progbits,_ZN2at6native12_GLOBAL__N_125multi_tensor_apply_kernelINS1_32FusedOptimizerTensorListMetadataILi3EEENS1_23FusedAdagradMathFunctorIdEEJPKfddddbS8_S8_EEEvT_T0_DpT1_,comdat
.Lfunc_end0:
	.size	_ZN2at6native12_GLOBAL__N_125multi_tensor_apply_kernelINS1_32FusedOptimizerTensorListMetadataILi3EEENS1_23FusedAdagradMathFunctorIdEEJPKfddddbS8_S8_EEEvT_T0_DpT1_, .Lfunc_end0-_ZN2at6native12_GLOBAL__N_125multi_tensor_apply_kernelINS1_32FusedOptimizerTensorListMetadataILi3EEENS1_23FusedAdagradMathFunctorIdEEJPKfddddbS8_S8_EEEvT_T0_DpT1_
                                        ; -- End function
	.set _ZN2at6native12_GLOBAL__N_125multi_tensor_apply_kernelINS1_32FusedOptimizerTensorListMetadataILi3EEENS1_23FusedAdagradMathFunctorIdEEJPKfddddbS8_S8_EEEvT_T0_DpT1_.num_vgpr, 86
	.set _ZN2at6native12_GLOBAL__N_125multi_tensor_apply_kernelINS1_32FusedOptimizerTensorListMetadataILi3EEENS1_23FusedAdagradMathFunctorIdEEJPKfddddbS8_S8_EEEvT_T0_DpT1_.num_agpr, 0
	.set _ZN2at6native12_GLOBAL__N_125multi_tensor_apply_kernelINS1_32FusedOptimizerTensorListMetadataILi3EEENS1_23FusedAdagradMathFunctorIdEEJPKfddddbS8_S8_EEEvT_T0_DpT1_.numbered_sgpr, 37
	.set _ZN2at6native12_GLOBAL__N_125multi_tensor_apply_kernelINS1_32FusedOptimizerTensorListMetadataILi3EEENS1_23FusedAdagradMathFunctorIdEEJPKfddddbS8_S8_EEEvT_T0_DpT1_.num_named_barrier, 0
	.set _ZN2at6native12_GLOBAL__N_125multi_tensor_apply_kernelINS1_32FusedOptimizerTensorListMetadataILi3EEENS1_23FusedAdagradMathFunctorIdEEJPKfddddbS8_S8_EEEvT_T0_DpT1_.private_seg_size, 0
	.set _ZN2at6native12_GLOBAL__N_125multi_tensor_apply_kernelINS1_32FusedOptimizerTensorListMetadataILi3EEENS1_23FusedAdagradMathFunctorIdEEJPKfddddbS8_S8_EEEvT_T0_DpT1_.uses_vcc, 1
	.set _ZN2at6native12_GLOBAL__N_125multi_tensor_apply_kernelINS1_32FusedOptimizerTensorListMetadataILi3EEENS1_23FusedAdagradMathFunctorIdEEJPKfddddbS8_S8_EEEvT_T0_DpT1_.uses_flat_scratch, 0
	.set _ZN2at6native12_GLOBAL__N_125multi_tensor_apply_kernelINS1_32FusedOptimizerTensorListMetadataILi3EEENS1_23FusedAdagradMathFunctorIdEEJPKfddddbS8_S8_EEEvT_T0_DpT1_.has_dyn_sized_stack, 0
	.set _ZN2at6native12_GLOBAL__N_125multi_tensor_apply_kernelINS1_32FusedOptimizerTensorListMetadataILi3EEENS1_23FusedAdagradMathFunctorIdEEJPKfddddbS8_S8_EEEvT_T0_DpT1_.has_recursion, 0
	.set _ZN2at6native12_GLOBAL__N_125multi_tensor_apply_kernelINS1_32FusedOptimizerTensorListMetadataILi3EEENS1_23FusedAdagradMathFunctorIdEEJPKfddddbS8_S8_EEEvT_T0_DpT1_.has_indirect_call, 0
	.section	.AMDGPU.csdata,"",@progbits
; Kernel info:
; codeLenInByte = 5652
; TotalNumSgprs: 39
; NumVgprs: 86
; ScratchSize: 0
; MemoryBound: 1
; FloatMode: 240
; IeeeMode: 1
; LDSByteSize: 0 bytes/workgroup (compile time only)
; SGPRBlocks: 0
; VGPRBlocks: 5
; NumSGPRsForWavesPerEU: 39
; NumVGPRsForWavesPerEU: 86
; NamedBarCnt: 0
; Occupancy: 10
; WaveLimiterHint : 0
; COMPUTE_PGM_RSRC2:SCRATCH_EN: 0
; COMPUTE_PGM_RSRC2:USER_SGPR: 2
; COMPUTE_PGM_RSRC2:TRAP_HANDLER: 0
; COMPUTE_PGM_RSRC2:TGID_X_EN: 1
; COMPUTE_PGM_RSRC2:TGID_Y_EN: 0
; COMPUTE_PGM_RSRC2:TGID_Z_EN: 0
; COMPUTE_PGM_RSRC2:TIDIG_COMP_CNT: 0
	.section	.text._ZN2at6native12_GLOBAL__N_125multi_tensor_apply_kernelINS1_32FusedOptimizerTensorListMetadataILi3EEENS1_23FusedAdagradMathFunctorIfEEJPKfddddbS8_S8_EEEvT_T0_DpT1_,"axG",@progbits,_ZN2at6native12_GLOBAL__N_125multi_tensor_apply_kernelINS1_32FusedOptimizerTensorListMetadataILi3EEENS1_23FusedAdagradMathFunctorIfEEJPKfddddbS8_S8_EEEvT_T0_DpT1_,comdat
	.globl	_ZN2at6native12_GLOBAL__N_125multi_tensor_apply_kernelINS1_32FusedOptimizerTensorListMetadataILi3EEENS1_23FusedAdagradMathFunctorIfEEJPKfddddbS8_S8_EEEvT_T0_DpT1_ ; -- Begin function _ZN2at6native12_GLOBAL__N_125multi_tensor_apply_kernelINS1_32FusedOptimizerTensorListMetadataILi3EEENS1_23FusedAdagradMathFunctorIfEEJPKfddddbS8_S8_EEEvT_T0_DpT1_
	.p2align	8
	.type	_ZN2at6native12_GLOBAL__N_125multi_tensor_apply_kernelINS1_32FusedOptimizerTensorListMetadataILi3EEENS1_23FusedAdagradMathFunctorIfEEJPKfddddbS8_S8_EEEvT_T0_DpT1_,@function
_ZN2at6native12_GLOBAL__N_125multi_tensor_apply_kernelINS1_32FusedOptimizerTensorListMetadataILi3EEENS1_23FusedAdagradMathFunctorIfEEJPKfddddbS8_S8_EEEvT_T0_DpT1_: ; @_ZN2at6native12_GLOBAL__N_125multi_tensor_apply_kernelINS1_32FusedOptimizerTensorListMetadataILi3EEENS1_23FusedAdagradMathFunctorIfEEJPKfddddbS8_S8_EEEvT_T0_DpT1_
; %bb.0:
	s_bfe_u32 s2, ttmp6, 0x4000c
	s_and_b32 s3, ttmp6, 15
	s_add_co_i32 s2, s2, 1
	s_getreg_b32 s4, hwreg(HW_REG_IB_STS2, 6, 4)
	s_mul_i32 s2, ttmp9, s2
	s_delay_alu instid0(SALU_CYCLE_1)
	s_add_co_i32 s3, s3, s2
	s_cmp_eq_u32 s4, 0
	s_load_b256 s[4:11], s[0:1], 0xdd0
	s_cselect_b32 s2, ttmp9, s3
	s_mov_b32 s3, 0
	v_mov_b32_e32 v1, s2
	global_load_u8 v1, v1, s[0:1] offset:1920
	s_wait_kmcnt 0x0
	v_mov_b64_e32 v[2:3], s[6:7]
	s_cmp_eq_u64 s[4:5], 0
	s_wait_loadcnt 0x0
	v_readfirstlane_b32 s19, v1
	s_cbranch_scc1 .LBB1_2
; %bb.1:
	s_load_b32 s4, s[4:5], 0x0
	s_wait_kmcnt 0x0
	v_cvt_f64_f32_e32 v[2:3], s4
.LBB1_2:
	s_load_b128 s[12:15], s[0:1], 0xe00
	s_wait_kmcnt 0x0
	s_cmp_eq_u64 s[14:15], 0
	s_cselect_b32 s4, -1, 0
	s_delay_alu instid0(SALU_CYCLE_1)
	s_and_b32 vcc_lo, exec_lo, s4
	s_cbranch_vccnz .LBB1_4
; %bb.3:
	s_load_b32 s4, s[14:15], 0x0
	s_wait_kmcnt 0x0
	s_cmp_neq_f32 s4, 1.0
	s_cselect_b32 s4, -1, 0
.LBB1_4:
	s_delay_alu instid0(SALU_CYCLE_1)
	s_and_not1_b32 vcc_lo, exec_lo, s4
	s_cbranch_vccnz .LBB1_74
; %bb.5:
	s_load_b96 s[16:18], s[0:1], 0xdf0
	s_wait_kmcnt 0x0
	s_bitcmp1_b32 s18, 0
	s_cselect_b32 s30, -1, 0
	s_and_b32 s19, s19, 0xff
	s_load_b64 s[4:5], s[0:1], s19 offset:0x600 scale_offset
	s_wait_kmcnt 0x0
	s_load_b32 s4, s[4:5], 0x0
	s_wait_kmcnt 0x0
	s_add_f32 s4, s4, -1.0
	s_delay_alu instid0(SALU_CYCLE_3) | instskip(SKIP_2) | instid1(SALU_CYCLE_1)
	v_cvt_f64_f32_e32 v[4:5], s4
	s_add_nc_u64 s[4:5], s[0:1], s[2:3]
	s_mul_u64 s[2:3], s[2:3], 3
	s_add_nc_u64 s[2:3], s[4:5], s[2:3]
	s_clause 0x4
	s_load_b32 s18, s[2:3], 0x8c0
	s_load_b64 s[4:5], s[0:1], s19 offset:0x180 scale_offset
	s_load_b64 s[6:7], s[0:1], s19 offset:0x300 scale_offset
	;; [unrolled: 1-line block ×4, first 2 shown]
	s_wait_kmcnt 0x0
	s_ashr_i32 s19, s18, 31
	s_delay_alu instid0(SALU_CYCLE_1) | instskip(NEXT) | instid1(VALU_DEP_1)
	s_lshl_b64 s[2:3], s[18:19], 16
	v_fma_f64 v[4:5], s[8:9], v[4:5], 1.0
	s_lshl_b64 s[8:9], s[18:19], 18
	s_delay_alu instid0(SALU_CYCLE_1) | instskip(SKIP_3) | instid1(SALU_CYCLE_1)
	s_add_nc_u64 s[20:21], s[4:5], s[8:9]
	s_add_nc_u64 s[22:23], s[6:7], s[8:9]
	;; [unrolled: 1-line block ×3, first 2 shown]
	s_or_b32 s18, s22, s20
	s_and_b32 s28, s18, 15
	s_and_b64 s[18:19], s[24:25], 15
	s_cmp_lg_u32 s28, 0
	s_cselect_b32 s31, -1, 0
	s_and_b64 s[28:29], s[26:27], 3
	s_delay_alu instid0(SALU_CYCLE_1) | instskip(NEXT) | instid1(SALU_CYCLE_1)
	s_or_b64 s[18:19], s[18:19], s[28:29]
	s_cmp_lg_u64 s[18:19], 0
	s_cselect_b32 s18, -1, 0
	s_delay_alu instid0(SALU_CYCLE_1) | instskip(SKIP_2) | instid1(VALU_DEP_1)
	s_or_b32 s28, s31, s18
	s_sub_nc_u64 s[18:19], s[26:27], s[2:3]
	s_mov_b32 s2, -1
	v_div_scale_f64 v[6:7], null, v[4:5], v[4:5], v[2:3]
	v_div_scale_f64 v[12:13], vcc_lo, v[2:3], v[4:5], v[2:3]
	s_delay_alu instid0(VALU_DEP_2) | instskip(SKIP_1) | instid1(TRANS32_DEP_1)
	v_rcp_f64_e32 v[8:9], v[6:7]
	v_nop
	v_fma_f64 v[10:11], -v[6:7], v[8:9], 1.0
	s_delay_alu instid0(VALU_DEP_1) | instskip(NEXT) | instid1(VALU_DEP_1)
	v_fmac_f64_e32 v[8:9], v[8:9], v[10:11]
	v_fma_f64 v[10:11], -v[6:7], v[8:9], 1.0
	s_delay_alu instid0(VALU_DEP_1) | instskip(NEXT) | instid1(VALU_DEP_1)
	v_fmac_f64_e32 v[8:9], v[8:9], v[10:11]
	v_mul_f64_e32 v[10:11], v[12:13], v[8:9]
	s_delay_alu instid0(VALU_DEP_1) | instskip(NEXT) | instid1(VALU_DEP_1)
	v_fma_f64 v[6:7], -v[6:7], v[10:11], v[12:13]
	v_div_fmas_f64 v[6:7], v[6:7], v[8:9], v[10:11]
	s_and_not1_b32 vcc_lo, exec_lo, s28
	s_delay_alu instid0(VALU_DEP_1)
	v_div_fixup_f64 v[14:15], v[6:7], v[4:5], v[2:3]
	s_cbranch_vccz .LBB1_20
; %bb.6:
	v_min_i64 v[16:17], 0x10000, s[18:19]
	v_dual_mov_b32 v19, 0 :: v_dual_lshlrev_b32 v18, 2, v0
	s_mov_b32 s31, exec_lo
	s_delay_alu instid0(VALU_DEP_1)
	v_cmpx_lt_i64_e64 v[18:19], v[16:17]
	s_cbranch_execz .LBB1_19
; %bb.7:
	v_cmp_neq_f64_e64 s2, s[10:11], 0
	s_load_b32 s3, s[0:1], 0xe1c
	v_dual_mov_b32 v1, v19 :: v_dual_lshlrev_b32 v18, 4, v0
	s_cmp_lg_u64 s[12:13], 0
	s_mov_b32 s27, 0
	s_cselect_b32 s33, -1, 0
	s_delay_alu instid0(VALU_DEP_1) | instskip(SKIP_4) | instid1(SALU_CYCLE_1)
	v_mov_b64_e32 v[20:21], v[0:1]
	s_mov_b32 s29, s27
	s_mov_b32 s34, s27
	s_wait_kmcnt 0x0
	s_and_b32 s26, s3, 0xffff
	s_lshl_b32 s28, s26, 4
	s_branch .LBB1_9
.LBB1_8:                                ;   in Loop: Header=BB1_9 Depth=1
	v_add_nc_u64_e32 v[20:21], s[26:27], v[20:21]
	s_add_nc_u64 s[22:23], s[22:23], s[28:29]
	s_add_nc_u64 s[24:25], s[24:25], s[28:29]
	;; [unrolled: 1-line block ×3, first 2 shown]
	global_store_b128 v[22:23], v[2:5], off
	s_wait_xcnt 0x1
	v_lshlrev_b64_e32 v[6:7], 2, v[20:21]
	s_delay_alu instid0(VALU_DEP_1)
	v_cmp_ge_i64_e32 vcc_lo, v[6:7], v[16:17]
	s_or_b32 s34, vcc_lo, s34
	s_wait_xcnt 0x0
	s_and_not1_b32 exec_lo, exec_lo, s34
	s_cbranch_execz .LBB1_19
.LBB1_9:                                ; =>This Inner Loop Header: Depth=1
	v_add_nc_u64_e32 v[26:27], s[24:25], v[18:19]
	v_add_nc_u64_e32 v[24:25], s[20:21], v[18:19]
	;; [unrolled: 1-line block ×3, first 2 shown]
	s_and_not1_b32 vcc_lo, exec_lo, s33
	global_load_b128 v[10:13], v[26:27], off
	global_load_b128 v[6:9], v[24:25], off
	;; [unrolled: 1-line block ×3, first 2 shown]
	s_cbranch_vccnz .LBB1_11
; %bb.10:                               ;   in Loop: Header=BB1_9 Depth=1
	global_load_b32 v1, v19, s[12:13]
	s_wait_loadcnt 0x0
	v_div_scale_f32 v28, null, v1, v1, v6
	s_delay_alu instid0(VALU_DEP_1) | instskip(SKIP_1) | instid1(TRANS32_DEP_1)
	v_rcp_f32_e32 v29, v28
	v_nop
	v_fma_f32 v30, -v28, v29, 1.0
	s_delay_alu instid0(VALU_DEP_1) | instskip(SKIP_1) | instid1(VALU_DEP_1)
	v_fmac_f32_e32 v29, v30, v29
	v_div_scale_f32 v30, vcc_lo, v6, v1, v6
	v_mul_f32_e32 v31, v30, v29
	s_delay_alu instid0(VALU_DEP_1) | instskip(NEXT) | instid1(VALU_DEP_1)
	v_fma_f32 v32, -v28, v31, v30
	v_fmac_f32_e32 v31, v32, v29
	s_delay_alu instid0(VALU_DEP_1) | instskip(NEXT) | instid1(VALU_DEP_1)
	v_fma_f32 v28, -v28, v31, v30
	v_div_fmas_f32 v28, v28, v29, v31
	s_delay_alu instid0(VALU_DEP_1)
	v_div_fixup_f32 v6, v28, v1, v6
.LBB1_11:                               ;   in Loop: Header=BB1_9 Depth=1
	s_and_not1_b32 vcc_lo, exec_lo, s33
	s_cbranch_vccnz .LBB1_13
; %bb.12:                               ;   in Loop: Header=BB1_9 Depth=1
	global_load_b32 v1, v19, s[12:13]
	s_wait_loadcnt 0x0
	v_div_scale_f32 v28, null, v1, v1, v7
	s_delay_alu instid0(VALU_DEP_1) | instskip(SKIP_1) | instid1(TRANS32_DEP_1)
	v_rcp_f32_e32 v29, v28
	v_nop
	v_fma_f32 v30, -v28, v29, 1.0
	s_delay_alu instid0(VALU_DEP_1) | instskip(SKIP_1) | instid1(VALU_DEP_1)
	v_fmac_f32_e32 v29, v30, v29
	v_div_scale_f32 v30, vcc_lo, v7, v1, v7
	v_mul_f32_e32 v31, v30, v29
	s_delay_alu instid0(VALU_DEP_1) | instskip(NEXT) | instid1(VALU_DEP_1)
	v_fma_f32 v32, -v28, v31, v30
	v_fmac_f32_e32 v31, v32, v29
	s_delay_alu instid0(VALU_DEP_1) | instskip(NEXT) | instid1(VALU_DEP_1)
	v_fma_f32 v28, -v28, v31, v30
	v_div_fmas_f32 v28, v28, v29, v31
	s_delay_alu instid0(VALU_DEP_1)
	v_div_fixup_f32 v7, v28, v1, v7
.LBB1_13:                               ;   in Loop: Header=BB1_9 Depth=1
	s_and_not1_b32 vcc_lo, exec_lo, s33
	;; [unrolled: 23-line block ×3, first 2 shown]
	s_cbranch_vccnz .LBB1_17
; %bb.16:                               ;   in Loop: Header=BB1_9 Depth=1
	global_load_b32 v1, v19, s[12:13]
	s_wait_loadcnt 0x0
	v_div_scale_f32 v28, null, v1, v1, v9
	s_delay_alu instid0(VALU_DEP_1) | instskip(SKIP_1) | instid1(TRANS32_DEP_1)
	v_rcp_f32_e32 v29, v28
	v_nop
	v_fma_f32 v30, -v28, v29, 1.0
	s_delay_alu instid0(VALU_DEP_1) | instskip(SKIP_1) | instid1(VALU_DEP_1)
	v_fmac_f32_e32 v29, v30, v29
	v_div_scale_f32 v30, vcc_lo, v9, v1, v9
	v_mul_f32_e32 v31, v30, v29
	s_delay_alu instid0(VALU_DEP_1) | instskip(NEXT) | instid1(VALU_DEP_1)
	v_fma_f32 v32, -v28, v31, v30
	v_fmac_f32_e32 v31, v32, v29
	s_delay_alu instid0(VALU_DEP_1) | instskip(NEXT) | instid1(VALU_DEP_1)
	v_fma_f32 v28, -v28, v31, v30
	v_div_fmas_f32 v28, v28, v29, v31
	s_delay_alu instid0(VALU_DEP_1)
	v_div_fixup_f32 v9, v28, v1, v9
.LBB1_17:                               ;   in Loop: Header=BB1_9 Depth=1
	s_wait_loadcnt 0x1
	s_delay_alu instid0(VALU_DEP_1) | instskip(SKIP_1) | instid1(VALU_DEP_2)
	v_cndmask_b32_e64 v1, v8, -v8, s30
	v_cvt_f64_f32_e32 v[28:29], v12
	v_cvt_f64_f32_e32 v[30:31], v1
	s_delay_alu instid0(VALU_DEP_1) | instskip(NEXT) | instid1(VALU_DEP_1)
	v_fmac_f64_e32 v[30:31], s[10:11], v[28:29]
	v_cvt_f32_f64_e32 v12, v[30:31]
	s_delay_alu instid0(VALU_DEP_1) | instskip(SKIP_1) | instid1(VALU_DEP_1)
	v_cndmask_b32_e64 v1, v1, v12, s2
	s_wait_loadcnt 0x0
	v_fma_f32 v4, v1, v1, v4
	v_cvt_f64_f32_e32 v[30:31], v1
	s_delay_alu instid0(VALU_DEP_2) | instskip(SKIP_1) | instid1(VALU_DEP_1)
	v_cmp_gt_f32_e32 vcc_lo, 0xf800000, v4
	v_mul_f32_e32 v1, 0x4f800000, v4
	v_cndmask_b32_e32 v1, v4, v1, vcc_lo
	s_delay_alu instid0(VALU_DEP_1) | instskip(SKIP_1) | instid1(TRANS32_DEP_1)
	v_sqrt_f32_e32 v12, v1
	v_nop
	v_add_nc_u32_e32 v32, -1, v12
	s_delay_alu instid0(VALU_DEP_1) | instskip(NEXT) | instid1(VALU_DEP_1)
	v_fma_f32 v33, -v32, v12, v1
	v_cmp_ge_f32_e64 s3, 0, v33
	v_dual_mul_f64 v[30:31], v[14:15], v[30:31] :: v_dual_add_nc_u32 v33, 1, v12
	s_delay_alu instid0(VALU_DEP_2) | instskip(NEXT) | instid1(VALU_DEP_2)
	v_cndmask_b32_e64 v32, v12, v32, s3
	v_fma_f32 v12, -v33, v12, v1
	s_delay_alu instid0(VALU_DEP_1) | instskip(NEXT) | instid1(VALU_DEP_1)
	v_cmp_lt_f32_e64 s3, 0, v12
	v_cndmask_b32_e64 v12, v32, v33, s3
	s_delay_alu instid0(VALU_DEP_1) | instskip(NEXT) | instid1(VALU_DEP_1)
	v_mul_f32_e32 v32, 0x37800000, v12
	v_cndmask_b32_e32 v12, v12, v32, vcc_lo
	v_cmp_class_f32_e64 vcc_lo, v1, 0x260
	s_delay_alu instid0(VALU_DEP_2) | instskip(NEXT) | instid1(VALU_DEP_1)
	v_cndmask_b32_e32 v1, v12, v1, vcc_lo
	v_cvt_f64_f32_e32 v[32:33], v1
	s_delay_alu instid0(VALU_DEP_1) | instskip(NEXT) | instid1(VALU_DEP_1)
	v_dual_add_f64 v[32:33], s[16:17], v[32:33] :: v_dual_cndmask_b32 v1, v7, -v7, s30
	v_div_scale_f64 v[34:35], null, v[32:33], v[32:33], v[30:31]
	s_delay_alu instid0(VALU_DEP_1) | instskip(SKIP_1) | instid1(TRANS32_DEP_1)
	v_rcp_f64_e32 v[36:37], v[34:35]
	v_nop
	v_fma_f64 v[38:39], -v[34:35], v[36:37], 1.0
	s_delay_alu instid0(VALU_DEP_1) | instskip(NEXT) | instid1(VALU_DEP_1)
	v_fmac_f64_e32 v[36:37], v[36:37], v[38:39]
	v_fma_f64 v[38:39], -v[34:35], v[36:37], 1.0
	s_delay_alu instid0(VALU_DEP_1) | instskip(SKIP_1) | instid1(VALU_DEP_1)
	v_fmac_f64_e32 v[36:37], v[36:37], v[38:39]
	v_div_scale_f64 v[38:39], vcc_lo, v[30:31], v[32:33], v[30:31]
	v_mul_f64_e32 v[40:41], v[38:39], v[36:37]
	s_delay_alu instid0(VALU_DEP_1) | instskip(NEXT) | instid1(VALU_DEP_1)
	v_fma_f64 v[34:35], -v[34:35], v[40:41], v[38:39]
	v_div_fmas_f64 v[34:35], v[34:35], v[36:37], v[40:41]
	s_delay_alu instid0(VALU_DEP_1) | instskip(NEXT) | instid1(VALU_DEP_1)
	v_div_fixup_f64 v[30:31], v[34:35], v[32:33], v[30:31]
	v_add_f64_e64 v[28:29], v[28:29], -v[30:31]
	v_cvt_f64_f32_e32 v[30:31], v1
	s_delay_alu instid0(VALU_DEP_2) | instskip(SKIP_1) | instid1(VALU_DEP_1)
	v_cvt_f32_f64_e32 v12, v[28:29]
	v_cvt_f64_f32_e32 v[28:29], v11
	v_fmac_f64_e32 v[30:31], s[10:11], v[28:29]
	s_delay_alu instid0(VALU_DEP_1) | instskip(NEXT) | instid1(VALU_DEP_1)
	v_cvt_f32_f64_e32 v11, v[30:31]
	v_cndmask_b32_e64 v1, v1, v11, s2
	s_delay_alu instid0(VALU_DEP_1) | instskip(SKIP_1) | instid1(VALU_DEP_2)
	v_fma_f32 v3, v1, v1, v3
	v_cvt_f64_f32_e32 v[30:31], v1
	v_cmp_gt_f32_e32 vcc_lo, 0xf800000, v3
	v_mul_f32_e32 v1, 0x4f800000, v3
	s_delay_alu instid0(VALU_DEP_1) | instskip(NEXT) | instid1(VALU_DEP_1)
	v_cndmask_b32_e32 v1, v3, v1, vcc_lo
	v_sqrt_f32_e32 v11, v1
	v_nop
	s_delay_alu instid0(TRANS32_DEP_1) | instskip(NEXT) | instid1(VALU_DEP_1)
	v_add_nc_u32_e32 v32, -1, v11
	v_fma_f32 v33, -v32, v11, v1
	s_delay_alu instid0(VALU_DEP_1) | instskip(NEXT) | instid1(VALU_DEP_1)
	v_cmp_ge_f32_e64 s3, 0, v33
	v_dual_add_nc_u32 v33, 1, v11 :: v_dual_cndmask_b32 v32, v11, v32, s3
	s_delay_alu instid0(VALU_DEP_1) | instskip(NEXT) | instid1(VALU_DEP_1)
	v_fma_f32 v11, -v33, v11, v1
	v_cmp_lt_f32_e64 s3, 0, v11
	s_delay_alu instid0(VALU_DEP_1) | instskip(NEXT) | instid1(VALU_DEP_1)
	v_dual_mul_f64 v[30:31], v[14:15], v[30:31] :: v_dual_cndmask_b32 v11, v32, v33, s3
	v_mul_f32_e32 v32, 0x37800000, v11
	s_delay_alu instid0(VALU_DEP_1) | instskip(SKIP_1) | instid1(VALU_DEP_2)
	v_cndmask_b32_e32 v11, v11, v32, vcc_lo
	v_cmp_class_f32_e64 vcc_lo, v1, 0x260
	v_cndmask_b32_e32 v1, v11, v1, vcc_lo
	s_delay_alu instid0(VALU_DEP_1) | instskip(NEXT) | instid1(VALU_DEP_1)
	v_cvt_f64_f32_e32 v[32:33], v1
	v_dual_add_f64 v[32:33], s[16:17], v[32:33] :: v_dual_cndmask_b32 v1, v6, -v6, s30
	s_delay_alu instid0(VALU_DEP_1) | instskip(NEXT) | instid1(VALU_DEP_1)
	v_div_scale_f64 v[34:35], null, v[32:33], v[32:33], v[30:31]
	v_rcp_f64_e32 v[36:37], v[34:35]
	v_nop
	s_delay_alu instid0(TRANS32_DEP_1) | instskip(NEXT) | instid1(VALU_DEP_1)
	v_fma_f64 v[38:39], -v[34:35], v[36:37], 1.0
	v_fmac_f64_e32 v[36:37], v[36:37], v[38:39]
	s_delay_alu instid0(VALU_DEP_1) | instskip(NEXT) | instid1(VALU_DEP_1)
	v_fma_f64 v[38:39], -v[34:35], v[36:37], 1.0
	v_fmac_f64_e32 v[36:37], v[36:37], v[38:39]
	v_div_scale_f64 v[38:39], vcc_lo, v[30:31], v[32:33], v[30:31]
	s_delay_alu instid0(VALU_DEP_1) | instskip(NEXT) | instid1(VALU_DEP_1)
	v_mul_f64_e32 v[40:41], v[38:39], v[36:37]
	v_fma_f64 v[34:35], -v[34:35], v[40:41], v[38:39]
	s_delay_alu instid0(VALU_DEP_1) | instskip(NEXT) | instid1(VALU_DEP_1)
	v_div_fmas_f64 v[34:35], v[34:35], v[36:37], v[40:41]
	v_div_fixup_f64 v[30:31], v[34:35], v[32:33], v[30:31]
	s_delay_alu instid0(VALU_DEP_1) | instskip(SKIP_1) | instid1(VALU_DEP_2)
	v_add_f64_e64 v[28:29], v[28:29], -v[30:31]
	v_cvt_f64_f32_e32 v[30:31], v1
	v_cvt_f32_f64_e32 v11, v[28:29]
	v_cvt_f64_f32_e32 v[28:29], v10
	s_delay_alu instid0(VALU_DEP_1) | instskip(NEXT) | instid1(VALU_DEP_1)
	v_fmac_f64_e32 v[30:31], s[10:11], v[28:29]
	v_cvt_f32_f64_e32 v10, v[30:31]
	s_delay_alu instid0(VALU_DEP_1) | instskip(NEXT) | instid1(VALU_DEP_1)
	v_cndmask_b32_e64 v1, v1, v10, s2
	v_cvt_f64_f32_e32 v[30:31], v1
	s_delay_alu instid0(VALU_DEP_1) | instskip(NEXT) | instid1(VALU_DEP_1)
	v_dual_mul_f64 v[30:31], v[14:15], v[30:31] :: v_dual_fma_f32 v2, v1, v1, v2
	v_cmp_gt_f32_e32 vcc_lo, 0xf800000, v2
	v_mul_f32_e32 v1, 0x4f800000, v2
	s_delay_alu instid0(VALU_DEP_1) | instskip(NEXT) | instid1(VALU_DEP_1)
	v_cndmask_b32_e32 v1, v2, v1, vcc_lo
	v_sqrt_f32_e32 v10, v1
	v_nop
	s_delay_alu instid0(TRANS32_DEP_1) | instskip(NEXT) | instid1(VALU_DEP_1)
	v_add_nc_u32_e32 v32, -1, v10
	v_fma_f32 v33, -v32, v10, v1
	s_delay_alu instid0(VALU_DEP_1) | instskip(NEXT) | instid1(VALU_DEP_1)
	v_cmp_ge_f32_e64 s3, 0, v33
	v_dual_add_nc_u32 v33, 1, v10 :: v_dual_cndmask_b32 v32, v10, v32, s3
	s_delay_alu instid0(VALU_DEP_1) | instskip(NEXT) | instid1(VALU_DEP_1)
	v_fma_f32 v10, -v33, v10, v1
	v_cmp_lt_f32_e64 s3, 0, v10
	s_delay_alu instid0(VALU_DEP_1) | instskip(NEXT) | instid1(VALU_DEP_1)
	v_cndmask_b32_e64 v10, v32, v33, s3
	v_mul_f32_e32 v32, 0x37800000, v10
	s_delay_alu instid0(VALU_DEP_1) | instskip(SKIP_1) | instid1(VALU_DEP_2)
	v_cndmask_b32_e32 v10, v10, v32, vcc_lo
	v_cmp_class_f32_e64 vcc_lo, v1, 0x260
	v_cndmask_b32_e32 v1, v10, v1, vcc_lo
	s_delay_alu instid0(VALU_DEP_1) | instskip(SKIP_1) | instid1(VALU_DEP_2)
	v_cvt_f64_f32_e32 v[32:33], v1
	v_cndmask_b32_e64 v1, v9, -v9, s30
	v_add_f64_e32 v[32:33], s[16:17], v[32:33]
	s_delay_alu instid0(VALU_DEP_1) | instskip(NEXT) | instid1(VALU_DEP_1)
	v_div_scale_f64 v[34:35], null, v[32:33], v[32:33], v[30:31]
	v_rcp_f64_e32 v[36:37], v[34:35]
	v_nop
	s_delay_alu instid0(TRANS32_DEP_1) | instskip(NEXT) | instid1(VALU_DEP_1)
	v_fma_f64 v[38:39], -v[34:35], v[36:37], 1.0
	v_fmac_f64_e32 v[36:37], v[36:37], v[38:39]
	s_delay_alu instid0(VALU_DEP_1) | instskip(NEXT) | instid1(VALU_DEP_1)
	v_fma_f64 v[38:39], -v[34:35], v[36:37], 1.0
	v_fmac_f64_e32 v[36:37], v[36:37], v[38:39]
	v_div_scale_f64 v[38:39], vcc_lo, v[30:31], v[32:33], v[30:31]
	s_delay_alu instid0(VALU_DEP_1) | instskip(NEXT) | instid1(VALU_DEP_1)
	v_mul_f64_e32 v[40:41], v[38:39], v[36:37]
	v_fma_f64 v[34:35], -v[34:35], v[40:41], v[38:39]
	s_delay_alu instid0(VALU_DEP_1) | instskip(NEXT) | instid1(VALU_DEP_1)
	v_div_fmas_f64 v[34:35], v[34:35], v[36:37], v[40:41]
	v_div_fixup_f64 v[30:31], v[34:35], v[32:33], v[30:31]
	s_delay_alu instid0(VALU_DEP_1) | instskip(SKIP_1) | instid1(VALU_DEP_2)
	v_add_f64_e64 v[28:29], v[28:29], -v[30:31]
	v_cvt_f64_f32_e32 v[30:31], v1
	v_cvt_f32_f64_e32 v10, v[28:29]
	v_cvt_f64_f32_e32 v[28:29], v13
	s_delay_alu instid0(VALU_DEP_1) | instskip(NEXT) | instid1(VALU_DEP_1)
	v_fmac_f64_e32 v[30:31], s[10:11], v[28:29]
	v_cvt_f32_f64_e32 v13, v[30:31]
	s_delay_alu instid0(VALU_DEP_1) | instskip(NEXT) | instid1(VALU_DEP_1)
	v_cndmask_b32_e64 v1, v1, v13, s2
	v_fmac_f32_e32 v5, v1, v1
	v_cvt_f64_f32_e32 v[30:31], v1
	s_delay_alu instid0(VALU_DEP_2) | instskip(SKIP_1) | instid1(VALU_DEP_1)
	v_cmp_gt_f32_e32 vcc_lo, 0xf800000, v5
	v_mul_f32_e32 v1, 0x4f800000, v5
	v_cndmask_b32_e32 v1, v5, v1, vcc_lo
	s_delay_alu instid0(VALU_DEP_1) | instskip(SKIP_1) | instid1(TRANS32_DEP_1)
	v_sqrt_f32_e32 v13, v1
	v_nop
	v_add_nc_u32_e32 v32, -1, v13
	s_delay_alu instid0(VALU_DEP_1) | instskip(NEXT) | instid1(VALU_DEP_1)
	v_fma_f32 v33, -v32, v13, v1
	v_cmp_ge_f32_e64 s3, 0, v33
	v_dual_mul_f64 v[30:31], v[14:15], v[30:31] :: v_dual_add_nc_u32 v33, 1, v13
	s_delay_alu instid0(VALU_DEP_2) | instskip(NEXT) | instid1(VALU_DEP_2)
	v_cndmask_b32_e64 v32, v13, v32, s3
	v_fma_f32 v13, -v33, v13, v1
	s_delay_alu instid0(VALU_DEP_1) | instskip(NEXT) | instid1(VALU_DEP_1)
	v_cmp_lt_f32_e64 s3, 0, v13
	v_cndmask_b32_e64 v13, v32, v33, s3
	s_delay_alu instid0(VALU_DEP_1) | instskip(NEXT) | instid1(VALU_DEP_1)
	v_mul_f32_e32 v32, 0x37800000, v13
	v_cndmask_b32_e32 v13, v13, v32, vcc_lo
	v_cmp_class_f32_e64 vcc_lo, v1, 0x260
	s_delay_alu instid0(VALU_DEP_2) | instskip(NEXT) | instid1(VALU_DEP_1)
	v_cndmask_b32_e32 v1, v13, v1, vcc_lo
	v_cvt_f64_f32_e32 v[32:33], v1
	s_delay_alu instid0(VALU_DEP_1) | instskip(NEXT) | instid1(VALU_DEP_1)
	v_add_f64_e32 v[32:33], s[16:17], v[32:33]
	v_div_scale_f64 v[34:35], null, v[32:33], v[32:33], v[30:31]
	s_delay_alu instid0(VALU_DEP_1) | instskip(SKIP_1) | instid1(TRANS32_DEP_1)
	v_rcp_f64_e32 v[36:37], v[34:35]
	v_nop
	v_fma_f64 v[38:39], -v[34:35], v[36:37], 1.0
	s_delay_alu instid0(VALU_DEP_1) | instskip(NEXT) | instid1(VALU_DEP_1)
	v_fmac_f64_e32 v[36:37], v[36:37], v[38:39]
	v_fma_f64 v[38:39], -v[34:35], v[36:37], 1.0
	s_delay_alu instid0(VALU_DEP_1) | instskip(SKIP_1) | instid1(VALU_DEP_1)
	v_fmac_f64_e32 v[36:37], v[36:37], v[38:39]
	v_div_scale_f64 v[38:39], vcc_lo, v[30:31], v[32:33], v[30:31]
	v_mul_f64_e32 v[40:41], v[38:39], v[36:37]
	s_delay_alu instid0(VALU_DEP_1) | instskip(NEXT) | instid1(VALU_DEP_1)
	v_fma_f64 v[34:35], -v[34:35], v[40:41], v[38:39]
	v_div_fmas_f64 v[34:35], v[34:35], v[36:37], v[40:41]
	s_and_not1_b32 vcc_lo, exec_lo, s33
	s_delay_alu instid0(VALU_DEP_1) | instskip(NEXT) | instid1(VALU_DEP_1)
	v_div_fixup_f64 v[30:31], v[34:35], v[32:33], v[30:31]
	v_add_f64_e64 v[28:29], v[28:29], -v[30:31]
	s_delay_alu instid0(VALU_DEP_1)
	v_cvt_f32_f64_e32 v13, v[28:29]
	global_store_b128 v[26:27], v[10:13], off
	s_cbranch_vccnz .LBB1_8
; %bb.18:                               ;   in Loop: Header=BB1_9 Depth=1
	global_store_b128 v[24:25], v[6:9], off
	s_branch .LBB1_8
.LBB1_19:
	s_or_b32 exec_lo, exec_lo, s31
	s_mov_b32 s2, 0
.LBB1_20:
	s_delay_alu instid0(SALU_CYCLE_1)
	s_and_not1_b32 vcc_lo, exec_lo, s2
	s_cbranch_vccnz .LBB1_74
; %bb.21:
	v_cmp_lt_i64_e64 s2, s[18:19], 1
	s_and_b32 vcc_lo, exec_lo, s2
	s_cbranch_vccnz .LBB1_74
; %bb.22:
	s_load_b32 s1, s[0:1], 0xe1c
	v_min_i64 v[2:3], 0x10000, s[18:19]
	v_min_u64 v[4:5], 0x10000, s[18:19]
	s_wait_xcnt 0x0
	v_cmp_neq_f64_e64 s0, s[10:11], 0
	v_dual_mov_b32 v1, 0 :: v_dual_lshlrev_b32 v16, 2, v0
	s_mov_b32 s21, 0
	s_delay_alu instid0(SALU_CYCLE_1) | instskip(NEXT) | instid1(VALU_DEP_1)
	s_mov_b32 s25, s21
	v_dual_mov_b32 v17, v1 :: v_dual_mov_b32 v37, v1
	s_mov_b32 s3, s21
	s_mov_b32 s19, s21
	s_delay_alu instid0(VALU_DEP_1) | instskip(SKIP_4) | instid1(SALU_CYCLE_1)
	v_add_nc_u64_e32 v[6:7], s[14:15], v[16:17]
	v_add_nc_u64_e32 v[8:9], s[4:5], v[16:17]
	;; [unrolled: 1-line block ×3, first 2 shown]
	s_wait_kmcnt 0x0
	s_and_b32 s20, s1, 0xffff
	s_lshl_b32 s2, s20, 1
	v_add_nc_u64_e32 v[12:13], s[20:21], v[0:1]
	v_mad_nc_u64_u32 v[24:25], s20, 12, v[16:17]
	s_cmp_lg_u64 s[12:13], 0
	s_mul_i32 s18, s20, 3
	s_cselect_b32 s22, -1, 0
	s_lshl_b32 s24, s20, 3
	v_add_nc_u64_e32 v[18:19], s[2:3], v[0:1]
	v_add_nc_u64_e32 v[30:31], s[24:25], v[16:17]
	v_lshlrev_b32_e32 v36, 2, v12
	v_add_nc_u64_e32 v[16:17], s[18:19], v[0:1]
	s_lshl_b32 s18, s20, 2
	s_lshl_b32 s20, s20, 4
	v_add_nc_u64_e32 v[20:21], s[14:15], v[24:25]
	v_add_nc_u64_e32 v[22:23], s[4:5], v[24:25]
	;; [unrolled: 1-line block ×9, first 2 shown]
	s_mov_b64 s[14:15], 0
	s_branch .LBB1_24
.LBB1_23:                               ;   in Loop: Header=BB1_24 Depth=1
	s_wait_xcnt 0x0
	s_or_b32 exec_lo, exec_lo, s1
	s_add_nc_u64 s[14:15], s[14:15], s[18:19]
	v_add_nc_u64_e32 v[6:7], s[20:21], v[6:7]
	v_cmp_ge_i64_e32 vcc_lo, s[14:15], v[2:3]
	v_add_nc_u64_e32 v[8:9], s[20:21], v[8:9]
	v_add_nc_u64_e32 v[10:11], s[20:21], v[10:11]
	v_add_nc_u64_e32 v[20:21], s[20:21], v[20:21]
	v_add_nc_u64_e32 v[22:23], s[20:21], v[22:23]
	v_add_nc_u64_e32 v[24:25], s[20:21], v[24:25]
	v_add_nc_u64_e32 v[26:27], s[20:21], v[26:27]
	v_add_nc_u64_e32 v[28:29], s[20:21], v[28:29]
	v_add_nc_u64_e32 v[30:31], s[20:21], v[30:31]
	v_add_nc_u64_e32 v[32:33], s[20:21], v[32:33]
	v_add_nc_u64_e32 v[34:35], s[20:21], v[34:35]
	v_add_nc_u64_e32 v[36:37], s[20:21], v[36:37]
	s_cbranch_vccnz .LBB1_74
.LBB1_24:                               ; =>This Inner Loop Header: Depth=1
	v_add_nc_u64_e32 v[38:39], s[14:15], v[0:1]
	v_mov_b64_e32 v[44:45], 0
	v_mov_b32_e32 v47, 0
	s_delay_alu instid0(VALU_DEP_3)
	v_cmp_lt_u64_e64 s1, v[38:39], v[4:5]
	s_and_saveexec_b32 s2, s1
	s_cbranch_execz .LBB1_26
; %bb.25:                               ;   in Loop: Header=BB1_24 Depth=1
	v_add_nc_u64_e32 v[38:39], s[8:9], v[6:7]
	global_load_b32 v40, v[38:39], off
	s_wait_xcnt 0x0
	v_add_nc_u64_e32 v[38:39], s[8:9], v[8:9]
	global_load_b32 v47, v[38:39], off
	s_wait_loadcnt 0x1
	v_cvt_f64_f32_e32 v[44:45], v40
.LBB1_26:                               ;   in Loop: Header=BB1_24 Depth=1
	s_wait_xcnt 0x0
	s_or_b32 exec_lo, exec_lo, s2
	v_dual_mov_b32 v49, 0 :: v_dual_mov_b32 v46, 0
	s_and_saveexec_b32 s2, s1
	s_cbranch_execz .LBB1_28
; %bb.27:                               ;   in Loop: Header=BB1_24 Depth=1
	v_add_nc_u64_e32 v[38:39], s[8:9], v[10:11]
	global_load_b32 v46, v[38:39], off
.LBB1_28:                               ;   in Loop: Header=BB1_24 Depth=1
	s_wait_xcnt 0x0
	s_or_b32 exec_lo, exec_lo, s2
	v_add_nc_u64_e32 v[38:39], s[14:15], v[12:13]
	v_mov_b64_e32 v[42:43], 0
	s_delay_alu instid0(VALU_DEP_2)
	v_cmp_lt_u64_e64 s2, v[38:39], v[4:5]
	s_and_saveexec_b32 s3, s2
	s_cbranch_execz .LBB1_30
; %bb.29:                               ;   in Loop: Header=BB1_24 Depth=1
	v_add_nc_u64_e32 v[38:39], s[8:9], v[32:33]
	global_load_b32 v40, v[38:39], off
	s_wait_xcnt 0x0
	v_add_nc_u64_e32 v[38:39], s[8:9], v[34:35]
	global_load_b32 v49, v[38:39], off
	s_wait_loadcnt 0x1
	v_cvt_f64_f32_e32 v[42:43], v40
.LBB1_30:                               ;   in Loop: Header=BB1_24 Depth=1
	s_wait_xcnt 0x0
	s_or_b32 exec_lo, exec_lo, s3
	v_dual_mov_b32 v51, 0 :: v_dual_mov_b32 v48, 0
	s_and_saveexec_b32 s3, s2
	s_cbranch_execz .LBB1_32
; %bb.31:                               ;   in Loop: Header=BB1_24 Depth=1
	v_add_nc_u64_e32 v[38:39], s[8:9], v[36:37]
	global_load_b32 v48, v[38:39], off
.LBB1_32:                               ;   in Loop: Header=BB1_24 Depth=1
	s_wait_xcnt 0x0
	s_or_b32 exec_lo, exec_lo, s3
	v_add_nc_u64_e32 v[38:39], s[14:15], v[18:19]
	v_mov_b64_e32 v[40:41], 0
	s_delay_alu instid0(VALU_DEP_2)
	v_cmp_lt_u64_e64 s3, v[38:39], v[4:5]
	s_and_saveexec_b32 s4, s3
	s_cbranch_execz .LBB1_34
; %bb.33:                               ;   in Loop: Header=BB1_24 Depth=1
	v_add_nc_u64_e32 v[38:39], s[8:9], v[26:27]
	global_load_b32 v40, v[38:39], off
	s_wait_xcnt 0x0
	v_add_nc_u64_e32 v[38:39], s[8:9], v[28:29]
	global_load_b32 v51, v[38:39], off
	s_wait_loadcnt 0x1
	v_cvt_f64_f32_e32 v[40:41], v40
.LBB1_34:                               ;   in Loop: Header=BB1_24 Depth=1
	s_wait_xcnt 0x0
	s_or_b32 exec_lo, exec_lo, s4
	v_dual_mov_b32 v53, 0 :: v_dual_mov_b32 v50, 0
	s_and_saveexec_b32 s4, s3
	s_cbranch_execz .LBB1_36
; %bb.35:                               ;   in Loop: Header=BB1_24 Depth=1
	v_add_nc_u64_e32 v[38:39], s[8:9], v[30:31]
	global_load_b32 v50, v[38:39], off
.LBB1_36:                               ;   in Loop: Header=BB1_24 Depth=1
	s_wait_xcnt 0x0
	s_or_b32 exec_lo, exec_lo, s4
	v_add_nc_u64_e32 v[38:39], s[14:15], v[16:17]
	s_delay_alu instid0(VALU_DEP_1)
	v_cmp_lt_u64_e64 s4, v[38:39], v[4:5]
	v_mov_b64_e32 v[38:39], 0
	s_and_saveexec_b32 s5, s4
	s_cbranch_execnz .LBB1_65
; %bb.37:                               ;   in Loop: Header=BB1_24 Depth=1
	s_or_b32 exec_lo, exec_lo, s5
	v_mov_b32_e32 v52, 0
	s_and_saveexec_b32 s5, s4
	s_cbranch_execnz .LBB1_66
.LBB1_38:                               ;   in Loop: Header=BB1_24 Depth=1
	s_or_b32 exec_lo, exec_lo, s5
	s_delay_alu instid0(SALU_CYCLE_1)
	s_and_not1_b32 vcc_lo, exec_lo, s22
	s_cbranch_vccnz .LBB1_40
.LBB1_39:                               ;   in Loop: Header=BB1_24 Depth=1
	global_load_b32 v54, v1, s[12:13]
	s_wait_loadcnt 0x0
	v_div_scale_f32 v55, null, v54, v54, v47
	s_delay_alu instid0(VALU_DEP_1) | instskip(SKIP_1) | instid1(TRANS32_DEP_1)
	v_rcp_f32_e32 v56, v55
	v_nop
	v_fma_f32 v57, -v55, v56, 1.0
	s_delay_alu instid0(VALU_DEP_1) | instskip(SKIP_1) | instid1(VALU_DEP_1)
	v_fmac_f32_e32 v56, v57, v56
	v_div_scale_f32 v57, vcc_lo, v47, v54, v47
	v_mul_f32_e32 v58, v57, v56
	s_delay_alu instid0(VALU_DEP_1) | instskip(NEXT) | instid1(VALU_DEP_1)
	v_fma_f32 v59, -v55, v58, v57
	v_fmac_f32_e32 v58, v59, v56
	s_delay_alu instid0(VALU_DEP_1) | instskip(NEXT) | instid1(VALU_DEP_1)
	v_fma_f32 v55, -v55, v58, v57
	v_div_fmas_f32 v55, v55, v56, v58
	s_delay_alu instid0(VALU_DEP_1)
	v_div_fixup_f32 v47, v55, v54, v47
.LBB1_40:                               ;   in Loop: Header=BB1_24 Depth=1
	s_and_not1_b32 vcc_lo, exec_lo, s22
	s_cbranch_vccnz .LBB1_42
; %bb.41:                               ;   in Loop: Header=BB1_24 Depth=1
	global_load_b32 v54, v1, s[12:13]
	s_wait_loadcnt 0x0
	v_div_scale_f32 v55, null, v54, v54, v49
	s_delay_alu instid0(VALU_DEP_1) | instskip(SKIP_1) | instid1(TRANS32_DEP_1)
	v_rcp_f32_e32 v56, v55
	v_nop
	v_fma_f32 v57, -v55, v56, 1.0
	s_delay_alu instid0(VALU_DEP_1) | instskip(SKIP_1) | instid1(VALU_DEP_1)
	v_fmac_f32_e32 v56, v57, v56
	v_div_scale_f32 v57, vcc_lo, v49, v54, v49
	v_mul_f32_e32 v58, v57, v56
	s_delay_alu instid0(VALU_DEP_1) | instskip(NEXT) | instid1(VALU_DEP_1)
	v_fma_f32 v59, -v55, v58, v57
	v_fmac_f32_e32 v58, v59, v56
	s_delay_alu instid0(VALU_DEP_1) | instskip(NEXT) | instid1(VALU_DEP_1)
	v_fma_f32 v55, -v55, v58, v57
	v_div_fmas_f32 v55, v55, v56, v58
	s_delay_alu instid0(VALU_DEP_1)
	v_div_fixup_f32 v49, v55, v54, v49
.LBB1_42:                               ;   in Loop: Header=BB1_24 Depth=1
	s_and_not1_b32 vcc_lo, exec_lo, s22
	s_cbranch_vccnz .LBB1_44
; %bb.43:                               ;   in Loop: Header=BB1_24 Depth=1
	global_load_b32 v54, v1, s[12:13]
	s_wait_loadcnt 0x0
	v_div_scale_f32 v55, null, v54, v54, v51
	s_delay_alu instid0(VALU_DEP_1) | instskip(SKIP_1) | instid1(TRANS32_DEP_1)
	v_rcp_f32_e32 v56, v55
	v_nop
	v_fma_f32 v57, -v55, v56, 1.0
	s_delay_alu instid0(VALU_DEP_1) | instskip(SKIP_1) | instid1(VALU_DEP_1)
	v_fmac_f32_e32 v56, v57, v56
	v_div_scale_f32 v57, vcc_lo, v51, v54, v51
	v_mul_f32_e32 v58, v57, v56
	s_delay_alu instid0(VALU_DEP_1) | instskip(NEXT) | instid1(VALU_DEP_1)
	v_fma_f32 v59, -v55, v58, v57
	v_fmac_f32_e32 v58, v59, v56
	s_delay_alu instid0(VALU_DEP_1) | instskip(NEXT) | instid1(VALU_DEP_1)
	v_fma_f32 v55, -v55, v58, v57
	v_div_fmas_f32 v55, v55, v56, v58
	s_delay_alu instid0(VALU_DEP_1)
	v_div_fixup_f32 v51, v55, v54, v51
.LBB1_44:                               ;   in Loop: Header=BB1_24 Depth=1
	;; [unrolled: 23-line block ×3, first 2 shown]
	s_wait_loadcnt 0x0
	v_cndmask_b32_e64 v56, v47, -v47, s30
	s_delay_alu instid0(VALU_DEP_1) | instskip(NEXT) | instid1(VALU_DEP_1)
	v_cvt_f64_f32_e32 v[54:55], v56
	v_fmac_f64_e32 v[54:55], s[10:11], v[44:45]
	s_delay_alu instid0(VALU_DEP_1) | instskip(NEXT) | instid1(VALU_DEP_1)
	v_cvt_f32_f64_e32 v54, v[54:55]
	v_cndmask_b32_e64 v54, v56, v54, s0
	s_delay_alu instid0(VALU_DEP_1)
	v_fmac_f32_e32 v46, v54, v54
	s_wait_xcnt 0x0
	s_and_saveexec_b32 s7, s1
	s_cbranch_execz .LBB1_48
; %bb.47:                               ;   in Loop: Header=BB1_24 Depth=1
	s_delay_alu instid0(VALU_DEP_1) | instskip(SKIP_1) | instid1(VALU_DEP_2)
	v_mul_f32_e32 v55, 0x4f800000, v46
	v_cmp_gt_f32_e32 vcc_lo, 0xf800000, v46
	v_cndmask_b32_e32 v55, v46, v55, vcc_lo
	s_delay_alu instid0(VALU_DEP_1) | instskip(SKIP_1) | instid1(TRANS32_DEP_1)
	v_sqrt_f32_e32 v56, v55
	v_nop
	v_dual_add_nc_u32 v57, -1, v56 :: v_dual_add_nc_u32 v58, 1, v56
	s_delay_alu instid0(VALU_DEP_1) | instskip(NEXT) | instid1(VALU_DEP_1)
	v_dual_fma_f32 v59, -v57, v56, v55 :: v_dual_fma_f32 v60, -v58, v56, v55
	v_cmp_ge_f32_e64 s5, 0, v59
	s_delay_alu instid0(VALU_DEP_2) | instskip(NEXT) | instid1(VALU_DEP_2)
	v_cmp_lt_f32_e64 s6, 0, v60
	v_cndmask_b32_e64 v56, v56, v57, s5
	v_cmp_class_f32_e64 s5, v55, 0x260
	s_delay_alu instid0(VALU_DEP_2) | instskip(NEXT) | instid1(VALU_DEP_1)
	v_cndmask_b32_e64 v56, v56, v58, s6
	v_mul_f32_e32 v57, 0x37800000, v56
	s_delay_alu instid0(VALU_DEP_1) | instskip(NEXT) | instid1(VALU_DEP_1)
	v_cndmask_b32_e32 v56, v56, v57, vcc_lo
	v_cndmask_b32_e64 v56, v56, v55, s5
	v_cvt_f64_f32_e32 v[54:55], v54
	s_delay_alu instid0(VALU_DEP_2) | instskip(NEXT) | instid1(VALU_DEP_2)
	v_cvt_f64_f32_e32 v[56:57], v56
	v_mul_f64_e32 v[54:55], v[14:15], v[54:55]
	s_delay_alu instid0(VALU_DEP_2) | instskip(NEXT) | instid1(VALU_DEP_1)
	v_add_f64_e32 v[56:57], s[16:17], v[56:57]
	v_div_scale_f64 v[58:59], null, v[56:57], v[56:57], v[54:55]
	s_delay_alu instid0(VALU_DEP_1) | instskip(SKIP_1) | instid1(TRANS32_DEP_1)
	v_rcp_f64_e32 v[60:61], v[58:59]
	v_nop
	v_fma_f64 v[62:63], -v[58:59], v[60:61], 1.0
	s_delay_alu instid0(VALU_DEP_1) | instskip(NEXT) | instid1(VALU_DEP_1)
	v_fmac_f64_e32 v[60:61], v[60:61], v[62:63]
	v_fma_f64 v[62:63], -v[58:59], v[60:61], 1.0
	s_delay_alu instid0(VALU_DEP_1) | instskip(SKIP_1) | instid1(VALU_DEP_1)
	v_fmac_f64_e32 v[60:61], v[60:61], v[62:63]
	v_div_scale_f64 v[62:63], vcc_lo, v[54:55], v[56:57], v[54:55]
	v_mul_f64_e32 v[64:65], v[62:63], v[60:61]
	s_delay_alu instid0(VALU_DEP_1) | instskip(NEXT) | instid1(VALU_DEP_1)
	v_fma_f64 v[58:59], -v[58:59], v[64:65], v[62:63]
	v_div_fmas_f64 v[58:59], v[58:59], v[60:61], v[64:65]
	s_delay_alu instid0(VALU_DEP_1) | instskip(NEXT) | instid1(VALU_DEP_1)
	v_div_fixup_f64 v[54:55], v[58:59], v[56:57], v[54:55]
	v_add_f64_e64 v[44:45], v[44:45], -v[54:55]
	s_delay_alu instid0(VALU_DEP_1)
	v_cvt_f32_f64_e32 v54, v[44:45]
	v_add_nc_u64_e32 v[44:45], s[8:9], v[6:7]
	global_store_b32 v[44:45], v54, off
.LBB1_48:                               ;   in Loop: Header=BB1_24 Depth=1
	s_wait_xcnt 0x0
	s_or_b32 exec_lo, exec_lo, s7
	v_cndmask_b32_e64 v54, v49, -v49, s30
	s_delay_alu instid0(VALU_DEP_1) | instskip(NEXT) | instid1(VALU_DEP_1)
	v_cvt_f64_f32_e32 v[44:45], v54
	v_fmac_f64_e32 v[44:45], s[10:11], v[42:43]
	s_delay_alu instid0(VALU_DEP_1) | instskip(NEXT) | instid1(VALU_DEP_1)
	v_cvt_f32_f64_e32 v44, v[44:45]
	v_cndmask_b32_e64 v44, v54, v44, s0
	s_delay_alu instid0(VALU_DEP_1)
	v_fmac_f32_e32 v48, v44, v44
	s_and_saveexec_b32 s6, s2
	s_cbranch_execz .LBB1_50
; %bb.49:                               ;   in Loop: Header=BB1_24 Depth=1
	s_delay_alu instid0(VALU_DEP_1) | instskip(SKIP_1) | instid1(VALU_DEP_2)
	v_mul_f32_e32 v45, 0x4f800000, v48
	v_cmp_gt_f32_e32 vcc_lo, 0xf800000, v48
	v_cndmask_b32_e32 v45, v48, v45, vcc_lo
	s_delay_alu instid0(VALU_DEP_1) | instskip(SKIP_1) | instid1(TRANS32_DEP_1)
	v_sqrt_f32_e32 v54, v45
	v_nop
	v_dual_add_nc_u32 v55, -1, v54 :: v_dual_add_nc_u32 v56, 1, v54
	s_delay_alu instid0(VALU_DEP_1) | instskip(NEXT) | instid1(VALU_DEP_1)
	v_dual_fma_f32 v57, -v55, v54, v45 :: v_dual_fma_f32 v58, -v56, v54, v45
	v_cmp_ge_f32_e64 s5, 0, v57
	s_delay_alu instid0(VALU_DEP_1) | instskip(NEXT) | instid1(VALU_DEP_3)
	v_cndmask_b32_e64 v54, v54, v55, s5
	v_cmp_lt_f32_e64 s5, 0, v58
	s_delay_alu instid0(VALU_DEP_1) | instskip(NEXT) | instid1(VALU_DEP_1)
	v_cndmask_b32_e64 v54, v54, v56, s5
	v_mul_f32_e32 v55, 0x37800000, v54
	s_delay_alu instid0(VALU_DEP_1) | instskip(SKIP_1) | instid1(VALU_DEP_2)
	v_cndmask_b32_e32 v54, v54, v55, vcc_lo
	v_cmp_class_f32_e64 vcc_lo, v45, 0x260
	v_cndmask_b32_e32 v54, v54, v45, vcc_lo
	v_cvt_f64_f32_e32 v[44:45], v44
	s_delay_alu instid0(VALU_DEP_2) | instskip(NEXT) | instid1(VALU_DEP_2)
	v_cvt_f64_f32_e32 v[54:55], v54
	v_mul_f64_e32 v[44:45], v[14:15], v[44:45]
	s_delay_alu instid0(VALU_DEP_2) | instskip(NEXT) | instid1(VALU_DEP_1)
	v_add_f64_e32 v[54:55], s[16:17], v[54:55]
	v_div_scale_f64 v[56:57], null, v[54:55], v[54:55], v[44:45]
	s_delay_alu instid0(VALU_DEP_1) | instskip(SKIP_1) | instid1(TRANS32_DEP_1)
	v_rcp_f64_e32 v[58:59], v[56:57]
	v_nop
	v_fma_f64 v[60:61], -v[56:57], v[58:59], 1.0
	s_delay_alu instid0(VALU_DEP_1) | instskip(NEXT) | instid1(VALU_DEP_1)
	v_fmac_f64_e32 v[58:59], v[58:59], v[60:61]
	v_fma_f64 v[60:61], -v[56:57], v[58:59], 1.0
	s_delay_alu instid0(VALU_DEP_1) | instskip(SKIP_1) | instid1(VALU_DEP_1)
	v_fmac_f64_e32 v[58:59], v[58:59], v[60:61]
	v_div_scale_f64 v[60:61], vcc_lo, v[44:45], v[54:55], v[44:45]
	v_mul_f64_e32 v[62:63], v[60:61], v[58:59]
	s_delay_alu instid0(VALU_DEP_1) | instskip(NEXT) | instid1(VALU_DEP_1)
	v_fma_f64 v[56:57], -v[56:57], v[62:63], v[60:61]
	v_div_fmas_f64 v[56:57], v[56:57], v[58:59], v[62:63]
	s_delay_alu instid0(VALU_DEP_1) | instskip(NEXT) | instid1(VALU_DEP_1)
	v_div_fixup_f64 v[44:45], v[56:57], v[54:55], v[44:45]
	v_add_f64_e64 v[42:43], v[42:43], -v[44:45]
	s_delay_alu instid0(VALU_DEP_1)
	v_cvt_f32_f64_e32 v44, v[42:43]
	v_add_nc_u64_e32 v[42:43], s[8:9], v[32:33]
	global_store_b32 v[42:43], v44, off
.LBB1_50:                               ;   in Loop: Header=BB1_24 Depth=1
	s_wait_xcnt 0x0
	s_or_b32 exec_lo, exec_lo, s6
	v_cndmask_b32_e64 v44, v51, -v51, s30
	s_delay_alu instid0(VALU_DEP_1) | instskip(NEXT) | instid1(VALU_DEP_1)
	v_cvt_f64_f32_e32 v[42:43], v44
	v_fmac_f64_e32 v[42:43], s[10:11], v[40:41]
	s_delay_alu instid0(VALU_DEP_1) | instskip(NEXT) | instid1(VALU_DEP_1)
	v_cvt_f32_f64_e32 v42, v[42:43]
	v_cndmask_b32_e64 v42, v44, v42, s0
	s_delay_alu instid0(VALU_DEP_1)
	v_fmac_f32_e32 v50, v42, v42
	s_and_saveexec_b32 s6, s3
	s_cbranch_execz .LBB1_52
; %bb.51:                               ;   in Loop: Header=BB1_24 Depth=1
	s_delay_alu instid0(VALU_DEP_1) | instskip(SKIP_1) | instid1(VALU_DEP_2)
	v_mul_f32_e32 v43, 0x4f800000, v50
	v_cmp_gt_f32_e32 vcc_lo, 0xf800000, v50
	v_cndmask_b32_e32 v43, v50, v43, vcc_lo
	s_delay_alu instid0(VALU_DEP_1) | instskip(SKIP_1) | instid1(TRANS32_DEP_1)
	v_sqrt_f32_e32 v44, v43
	v_nop
	v_dual_add_nc_u32 v45, -1, v44 :: v_dual_add_nc_u32 v54, 1, v44
	s_delay_alu instid0(VALU_DEP_1) | instskip(NEXT) | instid1(VALU_DEP_1)
	v_dual_fma_f32 v55, -v45, v44, v43 :: v_dual_fma_f32 v56, -v54, v44, v43
	v_cmp_ge_f32_e64 s5, 0, v55
	s_delay_alu instid0(VALU_DEP_1) | instskip(NEXT) | instid1(VALU_DEP_3)
	v_cndmask_b32_e64 v44, v44, v45, s5
	v_cmp_lt_f32_e64 s5, 0, v56
	s_delay_alu instid0(VALU_DEP_1) | instskip(NEXT) | instid1(VALU_DEP_1)
	v_cndmask_b32_e64 v44, v44, v54, s5
	v_mul_f32_e32 v45, 0x37800000, v44
	s_delay_alu instid0(VALU_DEP_1) | instskip(SKIP_1) | instid1(VALU_DEP_2)
	v_cndmask_b32_e32 v44, v44, v45, vcc_lo
	v_cmp_class_f32_e64 vcc_lo, v43, 0x260
	v_cndmask_b32_e32 v44, v44, v43, vcc_lo
	v_cvt_f64_f32_e32 v[42:43], v42
	s_delay_alu instid0(VALU_DEP_2) | instskip(NEXT) | instid1(VALU_DEP_2)
	v_cvt_f64_f32_e32 v[44:45], v44
	v_mul_f64_e32 v[42:43], v[14:15], v[42:43]
	s_delay_alu instid0(VALU_DEP_2) | instskip(NEXT) | instid1(VALU_DEP_1)
	v_add_f64_e32 v[44:45], s[16:17], v[44:45]
	v_div_scale_f64 v[54:55], null, v[44:45], v[44:45], v[42:43]
	s_delay_alu instid0(VALU_DEP_1) | instskip(SKIP_1) | instid1(TRANS32_DEP_1)
	v_rcp_f64_e32 v[56:57], v[54:55]
	v_nop
	v_fma_f64 v[58:59], -v[54:55], v[56:57], 1.0
	s_delay_alu instid0(VALU_DEP_1) | instskip(NEXT) | instid1(VALU_DEP_1)
	v_fmac_f64_e32 v[56:57], v[56:57], v[58:59]
	v_fma_f64 v[58:59], -v[54:55], v[56:57], 1.0
	s_delay_alu instid0(VALU_DEP_1) | instskip(SKIP_1) | instid1(VALU_DEP_1)
	v_fmac_f64_e32 v[56:57], v[56:57], v[58:59]
	v_div_scale_f64 v[58:59], vcc_lo, v[42:43], v[44:45], v[42:43]
	v_mul_f64_e32 v[60:61], v[58:59], v[56:57]
	s_delay_alu instid0(VALU_DEP_1) | instskip(NEXT) | instid1(VALU_DEP_1)
	v_fma_f64 v[54:55], -v[54:55], v[60:61], v[58:59]
	v_div_fmas_f64 v[54:55], v[54:55], v[56:57], v[60:61]
	s_delay_alu instid0(VALU_DEP_1) | instskip(NEXT) | instid1(VALU_DEP_1)
	v_div_fixup_f64 v[42:43], v[54:55], v[44:45], v[42:43]
	v_add_f64_e64 v[40:41], v[40:41], -v[42:43]
	s_delay_alu instid0(VALU_DEP_1)
	v_cvt_f32_f64_e32 v42, v[40:41]
	v_add_nc_u64_e32 v[40:41], s[8:9], v[26:27]
	global_store_b32 v[40:41], v42, off
.LBB1_52:                               ;   in Loop: Header=BB1_24 Depth=1
	;; [unrolled: 64-line block ×3, first 2 shown]
	s_wait_xcnt 0x0
	s_or_b32 exec_lo, exec_lo, s6
	s_delay_alu instid0(SALU_CYCLE_1)
	s_and_not1_b32 vcc_lo, exec_lo, s22
	s_cbranch_vccnz .LBB1_61
; %bb.55:                               ;   in Loop: Header=BB1_24 Depth=1
	s_and_saveexec_b32 s5, s1
	s_cbranch_execnz .LBB1_71
; %bb.56:                               ;   in Loop: Header=BB1_24 Depth=1
	s_or_b32 exec_lo, exec_lo, s5
	s_and_saveexec_b32 s5, s2
	s_cbranch_execnz .LBB1_72
.LBB1_57:                               ;   in Loop: Header=BB1_24 Depth=1
	s_or_b32 exec_lo, exec_lo, s5
	s_and_saveexec_b32 s5, s3
	s_cbranch_execnz .LBB1_73
.LBB1_58:                               ;   in Loop: Header=BB1_24 Depth=1
	s_or_b32 exec_lo, exec_lo, s5
	s_and_saveexec_b32 s5, s4
	s_cbranch_execz .LBB1_60
.LBB1_59:                               ;   in Loop: Header=BB1_24 Depth=1
	v_add_nc_u64_e32 v[38:39], s[8:9], v[22:23]
	global_store_b32 v[38:39], v53, off
.LBB1_60:                               ;   in Loop: Header=BB1_24 Depth=1
	s_wait_xcnt 0x0
	s_or_b32 exec_lo, exec_lo, s5
.LBB1_61:                               ;   in Loop: Header=BB1_24 Depth=1
	s_and_saveexec_b32 s5, s1
	s_cbranch_execnz .LBB1_67
; %bb.62:                               ;   in Loop: Header=BB1_24 Depth=1
	s_or_b32 exec_lo, exec_lo, s5
	s_and_saveexec_b32 s1, s2
	s_cbranch_execnz .LBB1_68
.LBB1_63:                               ;   in Loop: Header=BB1_24 Depth=1
	s_or_b32 exec_lo, exec_lo, s1
	s_and_saveexec_b32 s1, s3
	s_cbranch_execnz .LBB1_69
.LBB1_64:                               ;   in Loop: Header=BB1_24 Depth=1
	s_or_b32 exec_lo, exec_lo, s1
	s_and_saveexec_b32 s1, s4
	s_cbranch_execz .LBB1_23
	s_branch .LBB1_70
.LBB1_65:                               ;   in Loop: Header=BB1_24 Depth=1
	v_add_nc_u64_e32 v[38:39], s[8:9], v[20:21]
	global_load_b32 v52, v[38:39], off
	s_wait_xcnt 0x0
	v_add_nc_u64_e32 v[38:39], s[8:9], v[22:23]
	global_load_b32 v53, v[38:39], off
	s_wait_loadcnt 0x1
	s_wait_xcnt 0x0
	v_cvt_f64_f32_e32 v[38:39], v52
	s_or_b32 exec_lo, exec_lo, s5
	v_mov_b32_e32 v52, 0
	s_and_saveexec_b32 s5, s4
	s_cbranch_execz .LBB1_38
.LBB1_66:                               ;   in Loop: Header=BB1_24 Depth=1
	v_add_nc_u64_e32 v[54:55], s[8:9], v[24:25]
	global_load_b32 v52, v[54:55], off
	s_wait_xcnt 0x0
	s_or_b32 exec_lo, exec_lo, s5
	s_delay_alu instid0(SALU_CYCLE_1)
	s_and_not1_b32 vcc_lo, exec_lo, s22
	s_cbranch_vccz .LBB1_39
	s_branch .LBB1_40
.LBB1_67:                               ;   in Loop: Header=BB1_24 Depth=1
	v_add_nc_u64_e32 v[38:39], s[8:9], v[10:11]
	global_store_b32 v[38:39], v46, off
	s_wait_xcnt 0x0
	s_or_b32 exec_lo, exec_lo, s5
	s_and_saveexec_b32 s1, s2
	s_cbranch_execz .LBB1_63
.LBB1_68:                               ;   in Loop: Header=BB1_24 Depth=1
	v_add_nc_u64_e32 v[38:39], s[8:9], v[36:37]
	global_store_b32 v[38:39], v48, off
	s_wait_xcnt 0x0
	s_or_b32 exec_lo, exec_lo, s1
	s_and_saveexec_b32 s1, s3
	s_cbranch_execz .LBB1_64
.LBB1_69:                               ;   in Loop: Header=BB1_24 Depth=1
	v_add_nc_u64_e32 v[38:39], s[8:9], v[30:31]
	global_store_b32 v[38:39], v50, off
	s_wait_xcnt 0x0
	s_or_b32 exec_lo, exec_lo, s1
	s_and_saveexec_b32 s1, s4
	s_cbranch_execz .LBB1_23
.LBB1_70:                               ;   in Loop: Header=BB1_24 Depth=1
	v_add_nc_u64_e32 v[38:39], s[8:9], v[24:25]
	global_store_b32 v[38:39], v52, off
	s_branch .LBB1_23
.LBB1_71:                               ;   in Loop: Header=BB1_24 Depth=1
	v_add_nc_u64_e32 v[38:39], s[8:9], v[8:9]
	global_store_b32 v[38:39], v47, off
	s_wait_xcnt 0x0
	s_or_b32 exec_lo, exec_lo, s5
	s_and_saveexec_b32 s5, s2
	s_cbranch_execz .LBB1_57
.LBB1_72:                               ;   in Loop: Header=BB1_24 Depth=1
	v_add_nc_u64_e32 v[38:39], s[8:9], v[34:35]
	global_store_b32 v[38:39], v49, off
	s_wait_xcnt 0x0
	s_or_b32 exec_lo, exec_lo, s5
	s_and_saveexec_b32 s5, s3
	s_cbranch_execz .LBB1_58
.LBB1_73:                               ;   in Loop: Header=BB1_24 Depth=1
	v_add_nc_u64_e32 v[38:39], s[8:9], v[28:29]
	global_store_b32 v[38:39], v51, off
	s_wait_xcnt 0x0
	s_or_b32 exec_lo, exec_lo, s5
	s_and_saveexec_b32 s5, s4
	s_cbranch_execnz .LBB1_59
	s_branch .LBB1_60
.LBB1_74:
	s_sendmsg sendmsg(MSG_DEALLOC_VGPRS)
	s_endpgm
	.section	.rodata,"a",@progbits
	.p2align	6, 0x0
	.amdhsa_kernel _ZN2at6native12_GLOBAL__N_125multi_tensor_apply_kernelINS1_32FusedOptimizerTensorListMetadataILi3EEENS1_23FusedAdagradMathFunctorIfEEJPKfddddbS8_S8_EEEvT_T0_DpT1_
		.amdhsa_group_segment_fixed_size 0
		.amdhsa_private_segment_fixed_size 0
		.amdhsa_kernarg_size 3856
		.amdhsa_user_sgpr_count 2
		.amdhsa_user_sgpr_dispatch_ptr 0
		.amdhsa_user_sgpr_queue_ptr 0
		.amdhsa_user_sgpr_kernarg_segment_ptr 1
		.amdhsa_user_sgpr_dispatch_id 0
		.amdhsa_user_sgpr_kernarg_preload_length 0
		.amdhsa_user_sgpr_kernarg_preload_offset 0
		.amdhsa_user_sgpr_private_segment_size 0
		.amdhsa_wavefront_size32 1
		.amdhsa_uses_dynamic_stack 0
		.amdhsa_enable_private_segment 0
		.amdhsa_system_sgpr_workgroup_id_x 1
		.amdhsa_system_sgpr_workgroup_id_y 0
		.amdhsa_system_sgpr_workgroup_id_z 0
		.amdhsa_system_sgpr_workgroup_info 0
		.amdhsa_system_vgpr_workitem_id 0
		.amdhsa_next_free_vgpr 66
		.amdhsa_next_free_sgpr 35
		.amdhsa_named_barrier_count 0
		.amdhsa_reserve_vcc 1
		.amdhsa_float_round_mode_32 0
		.amdhsa_float_round_mode_16_64 0
		.amdhsa_float_denorm_mode_32 3
		.amdhsa_float_denorm_mode_16_64 3
		.amdhsa_fp16_overflow 0
		.amdhsa_memory_ordered 1
		.amdhsa_forward_progress 1
		.amdhsa_inst_pref_size 44
		.amdhsa_round_robin_scheduling 0
		.amdhsa_exception_fp_ieee_invalid_op 0
		.amdhsa_exception_fp_denorm_src 0
		.amdhsa_exception_fp_ieee_div_zero 0
		.amdhsa_exception_fp_ieee_overflow 0
		.amdhsa_exception_fp_ieee_underflow 0
		.amdhsa_exception_fp_ieee_inexact 0
		.amdhsa_exception_int_div_zero 0
	.end_amdhsa_kernel
	.section	.text._ZN2at6native12_GLOBAL__N_125multi_tensor_apply_kernelINS1_32FusedOptimizerTensorListMetadataILi3EEENS1_23FusedAdagradMathFunctorIfEEJPKfddddbS8_S8_EEEvT_T0_DpT1_,"axG",@progbits,_ZN2at6native12_GLOBAL__N_125multi_tensor_apply_kernelINS1_32FusedOptimizerTensorListMetadataILi3EEENS1_23FusedAdagradMathFunctorIfEEJPKfddddbS8_S8_EEEvT_T0_DpT1_,comdat
.Lfunc_end1:
	.size	_ZN2at6native12_GLOBAL__N_125multi_tensor_apply_kernelINS1_32FusedOptimizerTensorListMetadataILi3EEENS1_23FusedAdagradMathFunctorIfEEJPKfddddbS8_S8_EEEvT_T0_DpT1_, .Lfunc_end1-_ZN2at6native12_GLOBAL__N_125multi_tensor_apply_kernelINS1_32FusedOptimizerTensorListMetadataILi3EEENS1_23FusedAdagradMathFunctorIfEEJPKfddddbS8_S8_EEEvT_T0_DpT1_
                                        ; -- End function
	.set _ZN2at6native12_GLOBAL__N_125multi_tensor_apply_kernelINS1_32FusedOptimizerTensorListMetadataILi3EEENS1_23FusedAdagradMathFunctorIfEEJPKfddddbS8_S8_EEEvT_T0_DpT1_.num_vgpr, 66
	.set _ZN2at6native12_GLOBAL__N_125multi_tensor_apply_kernelINS1_32FusedOptimizerTensorListMetadataILi3EEENS1_23FusedAdagradMathFunctorIfEEJPKfddddbS8_S8_EEEvT_T0_DpT1_.num_agpr, 0
	.set _ZN2at6native12_GLOBAL__N_125multi_tensor_apply_kernelINS1_32FusedOptimizerTensorListMetadataILi3EEENS1_23FusedAdagradMathFunctorIfEEJPKfddddbS8_S8_EEEvT_T0_DpT1_.numbered_sgpr, 35
	.set _ZN2at6native12_GLOBAL__N_125multi_tensor_apply_kernelINS1_32FusedOptimizerTensorListMetadataILi3EEENS1_23FusedAdagradMathFunctorIfEEJPKfddddbS8_S8_EEEvT_T0_DpT1_.num_named_barrier, 0
	.set _ZN2at6native12_GLOBAL__N_125multi_tensor_apply_kernelINS1_32FusedOptimizerTensorListMetadataILi3EEENS1_23FusedAdagradMathFunctorIfEEJPKfddddbS8_S8_EEEvT_T0_DpT1_.private_seg_size, 0
	.set _ZN2at6native12_GLOBAL__N_125multi_tensor_apply_kernelINS1_32FusedOptimizerTensorListMetadataILi3EEENS1_23FusedAdagradMathFunctorIfEEJPKfddddbS8_S8_EEEvT_T0_DpT1_.uses_vcc, 1
	.set _ZN2at6native12_GLOBAL__N_125multi_tensor_apply_kernelINS1_32FusedOptimizerTensorListMetadataILi3EEENS1_23FusedAdagradMathFunctorIfEEJPKfddddbS8_S8_EEEvT_T0_DpT1_.uses_flat_scratch, 0
	.set _ZN2at6native12_GLOBAL__N_125multi_tensor_apply_kernelINS1_32FusedOptimizerTensorListMetadataILi3EEENS1_23FusedAdagradMathFunctorIfEEJPKfddddbS8_S8_EEEvT_T0_DpT1_.has_dyn_sized_stack, 0
	.set _ZN2at6native12_GLOBAL__N_125multi_tensor_apply_kernelINS1_32FusedOptimizerTensorListMetadataILi3EEENS1_23FusedAdagradMathFunctorIfEEJPKfddddbS8_S8_EEEvT_T0_DpT1_.has_recursion, 0
	.set _ZN2at6native12_GLOBAL__N_125multi_tensor_apply_kernelINS1_32FusedOptimizerTensorListMetadataILi3EEENS1_23FusedAdagradMathFunctorIfEEJPKfddddbS8_S8_EEEvT_T0_DpT1_.has_indirect_call, 0
	.section	.AMDGPU.csdata,"",@progbits
; Kernel info:
; codeLenInByte = 5596
; TotalNumSgprs: 37
; NumVgprs: 66
; ScratchSize: 0
; MemoryBound: 0
; FloatMode: 240
; IeeeMode: 1
; LDSByteSize: 0 bytes/workgroup (compile time only)
; SGPRBlocks: 0
; VGPRBlocks: 4
; NumSGPRsForWavesPerEU: 37
; NumVGPRsForWavesPerEU: 66
; NamedBarCnt: 0
; Occupancy: 12
; WaveLimiterHint : 0
; COMPUTE_PGM_RSRC2:SCRATCH_EN: 0
; COMPUTE_PGM_RSRC2:USER_SGPR: 2
; COMPUTE_PGM_RSRC2:TRAP_HANDLER: 0
; COMPUTE_PGM_RSRC2:TGID_X_EN: 1
; COMPUTE_PGM_RSRC2:TGID_Y_EN: 0
; COMPUTE_PGM_RSRC2:TGID_Z_EN: 0
; COMPUTE_PGM_RSRC2:TIDIG_COMP_CNT: 0
	.section	.text._ZN2at6native12_GLOBAL__N_125multi_tensor_apply_kernelINS1_32FusedOptimizerTensorListMetadataILi3EEENS1_23FusedAdagradMathFunctorIN3c104HalfEEEJPKfddddbSA_SA_EEEvT_T0_DpT1_,"axG",@progbits,_ZN2at6native12_GLOBAL__N_125multi_tensor_apply_kernelINS1_32FusedOptimizerTensorListMetadataILi3EEENS1_23FusedAdagradMathFunctorIN3c104HalfEEEJPKfddddbSA_SA_EEEvT_T0_DpT1_,comdat
	.globl	_ZN2at6native12_GLOBAL__N_125multi_tensor_apply_kernelINS1_32FusedOptimizerTensorListMetadataILi3EEENS1_23FusedAdagradMathFunctorIN3c104HalfEEEJPKfddddbSA_SA_EEEvT_T0_DpT1_ ; -- Begin function _ZN2at6native12_GLOBAL__N_125multi_tensor_apply_kernelINS1_32FusedOptimizerTensorListMetadataILi3EEENS1_23FusedAdagradMathFunctorIN3c104HalfEEEJPKfddddbSA_SA_EEEvT_T0_DpT1_
	.p2align	8
	.type	_ZN2at6native12_GLOBAL__N_125multi_tensor_apply_kernelINS1_32FusedOptimizerTensorListMetadataILi3EEENS1_23FusedAdagradMathFunctorIN3c104HalfEEEJPKfddddbSA_SA_EEEvT_T0_DpT1_,@function
_ZN2at6native12_GLOBAL__N_125multi_tensor_apply_kernelINS1_32FusedOptimizerTensorListMetadataILi3EEENS1_23FusedAdagradMathFunctorIN3c104HalfEEEJPKfddddbSA_SA_EEEvT_T0_DpT1_: ; @_ZN2at6native12_GLOBAL__N_125multi_tensor_apply_kernelINS1_32FusedOptimizerTensorListMetadataILi3EEENS1_23FusedAdagradMathFunctorIN3c104HalfEEEJPKfddddbSA_SA_EEEvT_T0_DpT1_
; %bb.0:
	s_bfe_u32 s2, ttmp6, 0x4000c
	s_and_b32 s3, ttmp6, 15
	s_add_co_i32 s2, s2, 1
	s_getreg_b32 s4, hwreg(HW_REG_IB_STS2, 6, 4)
	s_mul_i32 s2, ttmp9, s2
	s_delay_alu instid0(SALU_CYCLE_1)
	s_add_co_i32 s3, s3, s2
	s_cmp_eq_u32 s4, 0
	s_load_b256 s[4:11], s[0:1], 0xdd0
	s_cselect_b32 s2, ttmp9, s3
	s_mov_b32 s3, 0
	v_mov_b32_e32 v1, s2
	global_load_u8 v1, v1, s[0:1] offset:1920
	s_wait_kmcnt 0x0
	v_mov_b64_e32 v[2:3], s[6:7]
	s_cmp_eq_u64 s[4:5], 0
	s_wait_loadcnt 0x0
	v_readfirstlane_b32 s19, v1
	s_cbranch_scc1 .LBB2_2
; %bb.1:
	s_load_b32 s4, s[4:5], 0x0
	s_wait_kmcnt 0x0
	v_cvt_f64_f32_e32 v[2:3], s4
.LBB2_2:
	s_load_b128 s[12:15], s[0:1], 0xe00
	s_wait_kmcnt 0x0
	s_cmp_eq_u64 s[14:15], 0
	s_cselect_b32 s4, -1, 0
	s_delay_alu instid0(SALU_CYCLE_1)
	s_and_b32 vcc_lo, exec_lo, s4
	s_cbranch_vccnz .LBB2_4
; %bb.3:
	s_load_b32 s4, s[14:15], 0x0
	s_wait_kmcnt 0x0
	s_cmp_neq_f32 s4, 1.0
	s_cselect_b32 s4, -1, 0
.LBB2_4:
	s_delay_alu instid0(SALU_CYCLE_1)
	s_and_not1_b32 vcc_lo, exec_lo, s4
	s_cbranch_vccnz .LBB2_76
; %bb.5:
	s_load_b96 s[16:18], s[0:1], 0xdf0
	s_wait_kmcnt 0x0
	s_bitcmp1_b32 s18, 0
	s_cselect_b32 s30, -1, 0
	s_and_b32 s19, s19, 0xff
	s_load_b64 s[4:5], s[0:1], s19 offset:0x600 scale_offset
	s_wait_kmcnt 0x0
	s_load_b32 s4, s[4:5], 0x0
	s_wait_kmcnt 0x0
	s_add_f32 s4, s4, -1.0
	s_delay_alu instid0(SALU_CYCLE_3) | instskip(SKIP_2) | instid1(SALU_CYCLE_1)
	v_cvt_f64_f32_e32 v[4:5], s4
	s_add_nc_u64 s[4:5], s[0:1], s[2:3]
	s_mul_u64 s[2:3], s[2:3], 3
	s_add_nc_u64 s[2:3], s[4:5], s[2:3]
	s_clause 0x4
	s_load_b32 s18, s[2:3], 0x8c0
	s_load_b64 s[4:5], s[0:1], s19 offset:0x180 scale_offset
	s_load_b64 s[6:7], s[0:1], s19 offset:0x300 scale_offset
	;; [unrolled: 1-line block ×4, first 2 shown]
	s_wait_kmcnt 0x0
	s_ashr_i32 s19, s18, 31
	s_delay_alu instid0(SALU_CYCLE_1) | instskip(NEXT) | instid1(VALU_DEP_1)
	s_lshl_b64 s[2:3], s[18:19], 16
	v_fma_f64 v[4:5], s[8:9], v[4:5], 1.0
	s_lshl_b64 s[8:9], s[18:19], 17
	s_delay_alu instid0(SALU_CYCLE_1) | instskip(SKIP_3) | instid1(SALU_CYCLE_1)
	s_add_nc_u64 s[20:21], s[4:5], s[8:9]
	s_add_nc_u64 s[22:23], s[6:7], s[8:9]
	;; [unrolled: 1-line block ×3, first 2 shown]
	s_or_b32 s18, s22, s20
	s_and_b32 s28, s18, 7
	s_and_b64 s[18:19], s[24:25], 7
	s_cmp_lg_u32 s28, 0
	s_cselect_b32 s31, -1, 0
	s_and_b64 s[28:29], s[26:27], 3
	s_delay_alu instid0(SALU_CYCLE_1) | instskip(NEXT) | instid1(SALU_CYCLE_1)
	s_or_b64 s[18:19], s[18:19], s[28:29]
	s_cmp_lg_u64 s[18:19], 0
	s_cselect_b32 s18, -1, 0
	s_delay_alu instid0(SALU_CYCLE_1) | instskip(SKIP_2) | instid1(VALU_DEP_1)
	s_or_b32 s28, s31, s18
	s_sub_nc_u64 s[18:19], s[26:27], s[2:3]
	s_mov_b32 s2, -1
	v_div_scale_f64 v[6:7], null, v[4:5], v[4:5], v[2:3]
	v_div_scale_f64 v[12:13], vcc_lo, v[2:3], v[4:5], v[2:3]
	s_delay_alu instid0(VALU_DEP_2) | instskip(SKIP_1) | instid1(TRANS32_DEP_1)
	v_rcp_f64_e32 v[8:9], v[6:7]
	v_nop
	v_fma_f64 v[10:11], -v[6:7], v[8:9], 1.0
	s_delay_alu instid0(VALU_DEP_1) | instskip(NEXT) | instid1(VALU_DEP_1)
	v_fmac_f64_e32 v[8:9], v[8:9], v[10:11]
	v_fma_f64 v[10:11], -v[6:7], v[8:9], 1.0
	s_delay_alu instid0(VALU_DEP_1) | instskip(NEXT) | instid1(VALU_DEP_1)
	v_fmac_f64_e32 v[8:9], v[8:9], v[10:11]
	v_mul_f64_e32 v[10:11], v[12:13], v[8:9]
	s_delay_alu instid0(VALU_DEP_1) | instskip(NEXT) | instid1(VALU_DEP_1)
	v_fma_f64 v[6:7], -v[6:7], v[10:11], v[12:13]
	v_div_fmas_f64 v[6:7], v[6:7], v[8:9], v[10:11]
	s_and_not1_b32 vcc_lo, exec_lo, s28
	s_delay_alu instid0(VALU_DEP_1)
	v_div_fixup_f64 v[2:3], v[6:7], v[4:5], v[2:3]
	s_cbranch_vccz .LBB2_22
; %bb.6:
	v_min_i64 v[4:5], 0x10000, s[18:19]
	v_dual_mov_b32 v7, 0 :: v_dual_lshlrev_b32 v6, 2, v0
	s_mov_b32 s31, exec_lo
	s_delay_alu instid0(VALU_DEP_1)
	v_cmpx_lt_i64_e64 v[6:7], v[4:5]
	s_cbranch_execz .LBB2_21
; %bb.7:
	v_cmp_neq_f64_e64 s2, s[10:11], 0
	s_load_b32 s3, s[0:1], 0xe1c
	v_dual_mov_b32 v1, v7 :: v_dual_lshlrev_b32 v6, 3, v0
	s_cmp_lg_u64 s[12:13], 0
	v_mov_b32_e32 v22, 0x7e00
	s_cselect_b32 s33, -1, 0
	s_delay_alu instid0(VALU_DEP_2) | instskip(SKIP_1) | instid1(SALU_CYCLE_1)
	v_mov_b64_e32 v[8:9], v[0:1]
	s_mov_b32 s27, 0
	s_mov_b32 s29, s27
	;; [unrolled: 1-line block ×3, first 2 shown]
	s_wait_kmcnt 0x0
	s_and_b32 s26, s3, 0xffff
	s_delay_alu instid0(SALU_CYCLE_1)
	s_lshl_b32 s28, s26, 3
	s_branch .LBB2_9
.LBB2_8:                                ;   in Loop: Header=BB2_9 Depth=1
	v_add_nc_u64_e32 v[8:9], s[26:27], v[8:9]
	s_add_nc_u64 s[22:23], s[22:23], s[28:29]
	s_add_nc_u64 s[24:25], s[24:25], s[28:29]
	;; [unrolled: 1-line block ×3, first 2 shown]
	s_wait_xcnt 0x0
	s_delay_alu instid0(VALU_DEP_1) | instskip(NEXT) | instid1(VALU_DEP_1)
	v_lshlrev_b64_e32 v[12:13], 2, v[8:9]
	v_cmp_ge_i64_e32 vcc_lo, v[12:13], v[4:5]
	v_cvt_pk_f16_f32 v13, v21, v29
	v_cvt_pk_f16_f32 v12, v28, v26
	global_store_b64 v[10:11], v[12:13], off
	s_or_b32 s34, vcc_lo, s34
	s_wait_xcnt 0x0
	s_and_not1_b32 exec_lo, exec_lo, s34
	s_cbranch_execz .LBB2_21
.LBB2_9:                                ; =>This Inner Loop Header: Depth=1
	v_add_nc_u64_e32 v[14:15], s[20:21], v[6:7]
	v_add_nc_u64_e32 v[12:13], s[24:25], v[6:7]
	;; [unrolled: 1-line block ×3, first 2 shown]
	s_and_not1_b32 vcc_lo, exec_lo, s33
	global_load_b64 v[20:21], v[14:15], off
	global_load_b64 v[18:19], v[12:13], off
	;; [unrolled: 1-line block ×3, first 2 shown]
	s_wait_loadcnt 0x2
	v_cvt_f32_f16_e32 v1, v20
	s_cbranch_vccnz .LBB2_11
; %bb.10:                               ;   in Loop: Header=BB2_9 Depth=1
	global_load_b32 v23, v7, s[12:13]
	s_wait_loadcnt 0x0
	v_div_scale_f32 v24, null, v23, v23, v1
	s_delay_alu instid0(VALU_DEP_1) | instskip(SKIP_1) | instid1(TRANS32_DEP_1)
	v_rcp_f32_e32 v25, v24
	v_nop
	v_fma_f32 v26, -v24, v25, 1.0
	s_delay_alu instid0(VALU_DEP_1) | instskip(SKIP_1) | instid1(VALU_DEP_1)
	v_fmac_f32_e32 v25, v26, v25
	v_div_scale_f32 v26, vcc_lo, v1, v23, v1
	v_mul_f32_e32 v27, v26, v25
	s_delay_alu instid0(VALU_DEP_1) | instskip(NEXT) | instid1(VALU_DEP_1)
	v_fma_f32 v28, -v24, v27, v26
	v_fmac_f32_e32 v27, v28, v25
	s_delay_alu instid0(VALU_DEP_1) | instskip(NEXT) | instid1(VALU_DEP_1)
	v_fma_f32 v24, -v24, v27, v26
	v_div_fmas_f32 v24, v24, v25, v27
	s_delay_alu instid0(VALU_DEP_1)
	v_div_fixup_f32 v1, v24, v23, v1
.LBB2_11:                               ;   in Loop: Header=BB2_9 Depth=1
	v_lshrrev_b32_e32 v20, 16, v20
	s_and_not1_b32 vcc_lo, exec_lo, s33
	s_delay_alu instid0(VALU_DEP_1)
	v_cvt_f32_f16_e32 v20, v20
	s_cbranch_vccnz .LBB2_13
; %bb.12:                               ;   in Loop: Header=BB2_9 Depth=1
	global_load_b32 v23, v7, s[12:13]
	s_wait_loadcnt 0x0
	v_div_scale_f32 v24, null, v23, v23, v20
	s_delay_alu instid0(VALU_DEP_1) | instskip(SKIP_1) | instid1(TRANS32_DEP_1)
	v_rcp_f32_e32 v25, v24
	v_nop
	v_fma_f32 v26, -v24, v25, 1.0
	s_delay_alu instid0(VALU_DEP_1) | instskip(SKIP_1) | instid1(VALU_DEP_1)
	v_fmac_f32_e32 v25, v26, v25
	v_div_scale_f32 v26, vcc_lo, v20, v23, v20
	v_mul_f32_e32 v27, v26, v25
	s_delay_alu instid0(VALU_DEP_1) | instskip(NEXT) | instid1(VALU_DEP_1)
	v_fma_f32 v28, -v24, v27, v26
	v_fmac_f32_e32 v27, v28, v25
	s_delay_alu instid0(VALU_DEP_1) | instskip(NEXT) | instid1(VALU_DEP_1)
	v_fma_f32 v24, -v24, v27, v26
	v_div_fmas_f32 v24, v24, v25, v27
	s_delay_alu instid0(VALU_DEP_1)
	v_div_fixup_f32 v20, v24, v23, v20
.LBB2_13:                               ;   in Loop: Header=BB2_9 Depth=1
	v_cvt_f32_f16_e32 v23, v21
	s_and_not1_b32 vcc_lo, exec_lo, s33
	s_cbranch_vccnz .LBB2_15
; %bb.14:                               ;   in Loop: Header=BB2_9 Depth=1
	global_load_b32 v24, v7, s[12:13]
	s_wait_loadcnt 0x0
	v_div_scale_f32 v25, null, v24, v24, v23
	s_delay_alu instid0(VALU_DEP_1) | instskip(SKIP_1) | instid1(TRANS32_DEP_1)
	v_rcp_f32_e32 v26, v25
	v_nop
	v_fma_f32 v27, -v25, v26, 1.0
	s_delay_alu instid0(VALU_DEP_1) | instskip(SKIP_1) | instid1(VALU_DEP_1)
	v_fmac_f32_e32 v26, v27, v26
	v_div_scale_f32 v27, vcc_lo, v23, v24, v23
	v_mul_f32_e32 v28, v27, v26
	s_delay_alu instid0(VALU_DEP_1) | instskip(NEXT) | instid1(VALU_DEP_1)
	v_fma_f32 v29, -v25, v28, v27
	v_fmac_f32_e32 v28, v29, v26
	s_delay_alu instid0(VALU_DEP_1) | instskip(NEXT) | instid1(VALU_DEP_1)
	v_fma_f32 v25, -v25, v28, v27
	v_div_fmas_f32 v25, v25, v26, v28
	s_delay_alu instid0(VALU_DEP_1)
	v_div_fixup_f32 v23, v25, v24, v23
.LBB2_15:                               ;   in Loop: Header=BB2_9 Depth=1
	v_lshrrev_b32_e32 v21, 16, v21
	s_and_not1_b32 vcc_lo, exec_lo, s33
	s_delay_alu instid0(VALU_DEP_1)
	v_cvt_f32_f16_e32 v24, v21
	s_cbranch_vccnz .LBB2_17
; %bb.16:                               ;   in Loop: Header=BB2_9 Depth=1
	global_load_b32 v21, v7, s[12:13]
	s_wait_loadcnt 0x0
	v_div_scale_f32 v25, null, v21, v21, v24
	s_delay_alu instid0(VALU_DEP_1) | instskip(SKIP_1) | instid1(TRANS32_DEP_1)
	v_rcp_f32_e32 v26, v25
	v_nop
	v_fma_f32 v27, -v25, v26, 1.0
	s_delay_alu instid0(VALU_DEP_1) | instskip(SKIP_1) | instid1(VALU_DEP_1)
	v_fmac_f32_e32 v26, v27, v26
	v_div_scale_f32 v27, vcc_lo, v24, v21, v24
	v_mul_f32_e32 v28, v27, v26
	s_delay_alu instid0(VALU_DEP_1) | instskip(NEXT) | instid1(VALU_DEP_1)
	v_fma_f32 v29, -v25, v28, v27
	v_fmac_f32_e32 v28, v29, v26
	s_delay_alu instid0(VALU_DEP_1) | instskip(NEXT) | instid1(VALU_DEP_1)
	v_fma_f32 v25, -v25, v28, v27
	v_div_fmas_f32 v25, v25, v26, v28
	s_delay_alu instid0(VALU_DEP_1)
	v_div_fixup_f32 v24, v25, v21, v24
.LBB2_17:                               ;   in Loop: Header=BB2_9 Depth=1
	v_cndmask_b32_e64 v21, v23, -v23, s30
	s_wait_loadcnt 0x1
	v_cvt_f32_f16_e32 v25, v19
	s_delay_alu instid0(VALU_DEP_2) | instskip(NEXT) | instid1(VALU_DEP_2)
	v_cvt_f64_f32_e32 v[28:29], v21
	v_cvt_f64_f32_e32 v[26:27], v25
	s_delay_alu instid0(VALU_DEP_1) | instskip(NEXT) | instid1(VALU_DEP_1)
	v_fmac_f64_e32 v[28:29], s[10:11], v[26:27]
	v_cvt_f32_f64_e32 v25, v[28:29]
	s_delay_alu instid0(VALU_DEP_1) | instskip(SKIP_1) | instid1(VALU_DEP_1)
	v_cndmask_b32_e64 v25, v21, v25, s2
	s_wait_loadcnt 0x0
	v_fma_mix_f32 v21, v25, v25, v17 op_sel_hi:[0,0,1]
	v_cvt_f64_f32_e32 v[28:29], v25
	s_delay_alu instid0(VALU_DEP_2) | instskip(SKIP_1) | instid1(VALU_DEP_1)
	v_cmp_gt_f32_e32 vcc_lo, 0xf800000, v21
	v_mul_f32_e32 v25, 0x4f800000, v21
	v_cndmask_b32_e32 v25, v21, v25, vcc_lo
	s_delay_alu instid0(VALU_DEP_1) | instskip(SKIP_1) | instid1(TRANS32_DEP_1)
	v_sqrt_f32_e32 v30, v25
	v_nop
	v_add_nc_u32_e32 v31, -1, v30
	s_delay_alu instid0(VALU_DEP_1) | instskip(SKIP_1) | instid1(VALU_DEP_2)
	v_fma_f32 v32, -v31, v30, v25
	v_mul_f64_e32 v[28:29], v[2:3], v[28:29]
	v_cmp_ge_f32_e64 s3, 0, v32
	s_delay_alu instid0(VALU_DEP_1) | instskip(NEXT) | instid1(VALU_DEP_1)
	v_dual_add_nc_u32 v32, 1, v30 :: v_dual_cndmask_b32 v31, v30, v31, s3
	v_fma_f32 v30, -v32, v30, v25
	s_delay_alu instid0(VALU_DEP_1) | instskip(NEXT) | instid1(VALU_DEP_1)
	v_cmp_lt_f32_e64 s3, 0, v30
	v_cndmask_b32_e64 v30, v31, v32, s3
	s_delay_alu instid0(VALU_DEP_1) | instskip(NEXT) | instid1(VALU_DEP_1)
	v_mul_f32_e32 v31, 0x37800000, v30
	v_cndmask_b32_e32 v30, v30, v31, vcc_lo
	v_cmp_class_f32_e64 vcc_lo, v25, 0x260
	s_delay_alu instid0(VALU_DEP_2) | instskip(NEXT) | instid1(VALU_DEP_1)
	v_cndmask_b32_e32 v25, v30, v25, vcc_lo
	v_cvt_f64_f32_e32 v[30:31], v25
	s_delay_alu instid0(VALU_DEP_1) | instskip(NEXT) | instid1(VALU_DEP_1)
	v_add_f64_e32 v[30:31], s[16:17], v[30:31]
	v_div_scale_f64 v[32:33], null, v[30:31], v[30:31], v[28:29]
	s_delay_alu instid0(VALU_DEP_1) | instskip(SKIP_1) | instid1(TRANS32_DEP_1)
	v_rcp_f64_e32 v[34:35], v[32:33]
	v_nop
	v_fma_f64 v[36:37], -v[32:33], v[34:35], 1.0
	s_delay_alu instid0(VALU_DEP_1) | instskip(NEXT) | instid1(VALU_DEP_1)
	v_fmac_f64_e32 v[34:35], v[34:35], v[36:37]
	v_fma_f64 v[36:37], -v[32:33], v[34:35], 1.0
	s_delay_alu instid0(VALU_DEP_1) | instskip(SKIP_1) | instid1(VALU_DEP_1)
	v_fmac_f64_e32 v[34:35], v[34:35], v[36:37]
	v_div_scale_f64 v[36:37], vcc_lo, v[28:29], v[30:31], v[28:29]
	v_mul_f64_e32 v[38:39], v[36:37], v[34:35]
	s_delay_alu instid0(VALU_DEP_1) | instskip(NEXT) | instid1(VALU_DEP_1)
	v_fma_f64 v[32:33], -v[32:33], v[38:39], v[36:37]
	v_div_fmas_f64 v[32:33], v[32:33], v[34:35], v[38:39]
	s_delay_alu instid0(VALU_DEP_1) | instskip(NEXT) | instid1(VALU_DEP_1)
	v_div_fixup_f64 v[28:29], v[32:33], v[30:31], v[28:29]
	v_add_f64_e64 v[26:27], v[26:27], -v[28:29]
	s_delay_alu instid0(VALU_DEP_1) | instskip(SKIP_2) | instid1(VALU_DEP_3)
	v_and_or_b32 v25, 0x1ff, v27, v26
	v_lshrrev_b32_e32 v26, 8, v27
	v_bfe_u32 v28, v27, 20, 11
	v_cmp_ne_u32_e32 vcc_lo, 0, v25
	s_delay_alu instid0(VALU_DEP_2) | instskip(SKIP_2) | instid1(VALU_DEP_3)
	v_sub_nc_u32_e32 v29, 0x3f1, v28
	v_add_nc_u32_e32 v28, 0xfffffc10, v28
	v_cndmask_b32_e64 v25, 0, 1, vcc_lo
	v_med3_i32 v29, v29, 0, 13
	s_delay_alu instid0(VALU_DEP_2) | instskip(NEXT) | instid1(VALU_DEP_1)
	v_and_or_b32 v25, 0xffe, v26, v25
	v_or_b32_e32 v26, 0x1000, v25
	s_delay_alu instid0(VALU_DEP_1) | instskip(NEXT) | instid1(VALU_DEP_1)
	v_lshrrev_b32_e32 v30, v29, v26
	v_lshlrev_b32_e32 v29, v29, v30
	s_delay_alu instid0(VALU_DEP_1) | instskip(SKIP_3) | instid1(VALU_DEP_2)
	v_cmp_ne_u32_e32 vcc_lo, v29, v26
	v_lshl_or_b32 v29, v28, 12, v25
	v_cndmask_b32_e64 v26, 0, 1, vcc_lo
	v_cmp_gt_i32_e32 vcc_lo, 1, v28
	v_or_b32_e32 v26, v30, v26
	s_delay_alu instid0(VALU_DEP_1) | instskip(NEXT) | instid1(VALU_DEP_1)
	v_cndmask_b32_e32 v26, v29, v26, vcc_lo
	v_dual_lshrrev_b32 v26, 2, v26 :: v_dual_bitop2_b32 v29, 7, v26 bitop3:0x40
	s_delay_alu instid0(VALU_DEP_1) | instskip(SKIP_4) | instid1(VALU_DEP_2)
	v_cmp_lt_i32_e32 vcc_lo, 5, v29
	v_cndmask_b32_e64 v30, 0, 1, vcc_lo
	v_cmp_eq_u32_e32 vcc_lo, 3, v29
	v_cndmask_b32_e64 v29, 0, 1, vcc_lo
	v_cmp_gt_i32_e32 vcc_lo, 31, v28
	v_dual_cndmask_b32 v30, v20, -v20, s30 :: v_dual_bitop2_b32 v29, v29, v30 bitop3:0x54
	s_delay_alu instid0(VALU_DEP_1) | instskip(NEXT) | instid1(VALU_DEP_1)
	v_add_nc_u32_e32 v26, v26, v29
	v_cndmask_b32_e32 v26, 0x7c00, v26, vcc_lo
	v_cmp_ne_u32_e32 vcc_lo, 0, v25
	v_cndmask_b32_e32 v25, 0x7c00, v22, vcc_lo
	v_cmp_eq_u32_e32 vcc_lo, 0x40f, v28
	s_delay_alu instid0(VALU_DEP_2) | instskip(NEXT) | instid1(VALU_DEP_1)
	v_dual_cndmask_b32 v25, v26, v25 :: v_dual_lshrrev_b32 v26, 16, v27
	v_and_or_b32 v25, 0x8000, v26, v25
	v_lshrrev_b32_e32 v26, 16, v18
	v_cvt_f32_f16_e32 v18, v18
	s_delay_alu instid0(VALU_DEP_2) | instskip(NEXT) | instid1(VALU_DEP_1)
	v_cvt_f32_f16_e32 v26, v26
	v_cvt_f64_f32_e32 v[28:29], v26
	v_cvt_f64_f32_e32 v[26:27], v30
	s_delay_alu instid0(VALU_DEP_1) | instskip(NEXT) | instid1(VALU_DEP_1)
	v_fmac_f64_e32 v[26:27], s[10:11], v[28:29]
	v_cvt_f32_f64_e32 v26, v[26:27]
	s_delay_alu instid0(VALU_DEP_1) | instskip(NEXT) | instid1(VALU_DEP_1)
	v_cndmask_b32_e64 v27, v30, v26, s2
	v_fma_mix_f32 v26, v27, v27, v16 op_sel:[0,0,1] op_sel_hi:[0,0,1]
	v_cvt_f64_f32_e32 v[30:31], v27
	s_delay_alu instid0(VALU_DEP_2) | instskip(SKIP_1) | instid1(VALU_DEP_1)
	v_cmp_gt_f32_e32 vcc_lo, 0xf800000, v26
	v_mul_f32_e32 v27, 0x4f800000, v26
	v_cndmask_b32_e32 v27, v26, v27, vcc_lo
	s_delay_alu instid0(VALU_DEP_1) | instskip(SKIP_1) | instid1(TRANS32_DEP_1)
	v_sqrt_f32_e32 v32, v27
	v_nop
	v_add_nc_u32_e32 v33, -1, v32
	s_delay_alu instid0(VALU_DEP_1) | instskip(NEXT) | instid1(VALU_DEP_1)
	v_fma_f32 v34, -v33, v32, v27
	v_cmp_ge_f32_e64 s3, 0, v34
	v_dual_mul_f64 v[30:31], v[2:3], v[30:31] :: v_dual_add_nc_u32 v34, 1, v32
	s_delay_alu instid0(VALU_DEP_1) | instskip(NEXT) | instid1(VALU_DEP_1)
	v_dual_cndmask_b32 v33, v32, v33, s3 :: v_dual_fma_f32 v32, -v34, v32, v27
	v_cmp_lt_f32_e64 s3, 0, v32
	s_delay_alu instid0(VALU_DEP_1) | instskip(NEXT) | instid1(VALU_DEP_1)
	v_cndmask_b32_e64 v32, v33, v34, s3
	v_mul_f32_e32 v33, 0x37800000, v32
	s_delay_alu instid0(VALU_DEP_1) | instskip(SKIP_1) | instid1(VALU_DEP_2)
	v_cndmask_b32_e32 v32, v32, v33, vcc_lo
	v_cmp_class_f32_e64 vcc_lo, v27, 0x260
	v_cndmask_b32_e32 v27, v32, v27, vcc_lo
	s_delay_alu instid0(VALU_DEP_1) | instskip(NEXT) | instid1(VALU_DEP_1)
	v_cvt_f64_f32_e32 v[32:33], v27
	v_add_f64_e32 v[32:33], s[16:17], v[32:33]
	s_delay_alu instid0(VALU_DEP_1) | instskip(NEXT) | instid1(VALU_DEP_1)
	v_div_scale_f64 v[34:35], null, v[32:33], v[32:33], v[30:31]
	v_rcp_f64_e32 v[36:37], v[34:35]
	v_nop
	s_delay_alu instid0(TRANS32_DEP_1) | instskip(NEXT) | instid1(VALU_DEP_1)
	v_fma_f64 v[38:39], -v[34:35], v[36:37], 1.0
	v_fmac_f64_e32 v[36:37], v[36:37], v[38:39]
	s_delay_alu instid0(VALU_DEP_1) | instskip(NEXT) | instid1(VALU_DEP_1)
	v_fma_f64 v[38:39], -v[34:35], v[36:37], 1.0
	v_fmac_f64_e32 v[36:37], v[36:37], v[38:39]
	v_div_scale_f64 v[38:39], vcc_lo, v[30:31], v[32:33], v[30:31]
	s_delay_alu instid0(VALU_DEP_1) | instskip(NEXT) | instid1(VALU_DEP_1)
	v_mul_f64_e32 v[40:41], v[38:39], v[36:37]
	v_fma_f64 v[34:35], -v[34:35], v[40:41], v[38:39]
	s_delay_alu instid0(VALU_DEP_1) | instskip(NEXT) | instid1(VALU_DEP_1)
	v_div_fmas_f64 v[34:35], v[34:35], v[36:37], v[40:41]
	v_div_fixup_f64 v[30:31], v[34:35], v[32:33], v[30:31]
	s_delay_alu instid0(VALU_DEP_1) | instskip(NEXT) | instid1(VALU_DEP_1)
	v_add_f64_e64 v[28:29], v[28:29], -v[30:31]
	v_and_or_b32 v27, 0x1ff, v29, v28
	v_lshrrev_b32_e32 v28, 8, v29
	v_bfe_u32 v30, v29, 20, 11
	s_delay_alu instid0(VALU_DEP_3) | instskip(NEXT) | instid1(VALU_DEP_2)
	v_cmp_ne_u32_e32 vcc_lo, 0, v27
	v_sub_nc_u32_e32 v31, 0x3f1, v30
	v_add_nc_u32_e32 v30, 0xfffffc10, v30
	v_cndmask_b32_e64 v27, 0, 1, vcc_lo
	s_delay_alu instid0(VALU_DEP_3) | instskip(NEXT) | instid1(VALU_DEP_2)
	v_med3_i32 v31, v31, 0, 13
	v_and_or_b32 v27, 0xffe, v28, v27
	s_delay_alu instid0(VALU_DEP_1) | instskip(NEXT) | instid1(VALU_DEP_1)
	v_or_b32_e32 v28, 0x1000, v27
	v_lshrrev_b32_e32 v32, v31, v28
	s_delay_alu instid0(VALU_DEP_1) | instskip(NEXT) | instid1(VALU_DEP_1)
	v_lshlrev_b32_e32 v31, v31, v32
	v_cmp_ne_u32_e32 vcc_lo, v31, v28
	v_lshl_or_b32 v31, v30, 12, v27
	v_cndmask_b32_e64 v28, 0, 1, vcc_lo
	v_cmp_gt_i32_e32 vcc_lo, 1, v30
	s_delay_alu instid0(VALU_DEP_2) | instskip(NEXT) | instid1(VALU_DEP_1)
	v_or_b32_e32 v28, v32, v28
	v_cndmask_b32_e32 v28, v31, v28, vcc_lo
	s_delay_alu instid0(VALU_DEP_1) | instskip(NEXT) | instid1(VALU_DEP_1)
	v_and_b32_e32 v31, 7, v28
	v_cmp_lt_i32_e32 vcc_lo, 5, v31
	v_cndmask_b32_e64 v32, 0, 1, vcc_lo
	v_cmp_eq_u32_e32 vcc_lo, 3, v31
	v_cndmask_b32_e64 v31, 0, 1, vcc_lo
	v_cmp_gt_i32_e32 vcc_lo, 31, v30
	s_delay_alu instid0(VALU_DEP_2) | instskip(SKIP_1) | instid1(VALU_DEP_1)
	v_dual_cndmask_b32 v32, v1, -v1, s30 :: v_dual_bitop2_b32 v31, v31, v32 bitop3:0x54
	v_lshrrev_b32_e32 v28, 2, v28
	v_add_nc_u32_e32 v28, v28, v31
	s_delay_alu instid0(VALU_DEP_1) | instskip(SKIP_4) | instid1(VALU_DEP_3)
	v_cndmask_b32_e32 v28, 0x7c00, v28, vcc_lo
	v_cmp_ne_u32_e32 vcc_lo, 0, v27
	v_cndmask_b32_e32 v27, 0x7c00, v22, vcc_lo
	v_cmp_eq_u32_e32 vcc_lo, 0x40f, v30
	v_cvt_f64_f32_e32 v[30:31], v18
	v_dual_cndmask_b32 v27, v28, v27 :: v_dual_lshrrev_b32 v28, 16, v29
	s_delay_alu instid0(VALU_DEP_1) | instskip(SKIP_1) | instid1(VALU_DEP_1)
	v_and_or_b32 v27, 0x8000, v28, v27
	v_cvt_f64_f32_e32 v[28:29], v32
	v_fmac_f64_e32 v[28:29], s[10:11], v[30:31]
	s_delay_alu instid0(VALU_DEP_1) | instskip(NEXT) | instid1(VALU_DEP_1)
	v_cvt_f32_f64_e32 v18, v[28:29]
	v_cndmask_b32_e64 v18, v32, v18, s2
	s_delay_alu instid0(VALU_DEP_1) | instskip(NEXT) | instid1(VALU_DEP_1)
	v_cvt_f64_f32_e32 v[32:33], v18
	v_mul_f64_e32 v[32:33], v[2:3], v[32:33]
	v_fma_mix_f32 v28, v18, v18, v16 op_sel_hi:[0,0,1]
	s_delay_alu instid0(VALU_DEP_1) | instskip(SKIP_1) | instid1(VALU_DEP_1)
	v_cmp_gt_f32_e32 vcc_lo, 0xf800000, v28
	v_mul_f32_e32 v16, 0x4f800000, v28
	v_cndmask_b32_e32 v16, v28, v16, vcc_lo
	s_delay_alu instid0(VALU_DEP_1) | instskip(SKIP_1) | instid1(TRANS32_DEP_1)
	v_sqrt_f32_e32 v18, v16
	v_nop
	v_add_nc_u32_e32 v29, -1, v18
	s_delay_alu instid0(VALU_DEP_1) | instskip(NEXT) | instid1(VALU_DEP_1)
	v_fma_f32 v34, -v29, v18, v16
	v_cmp_ge_f32_e64 s3, 0, v34
	s_delay_alu instid0(VALU_DEP_1) | instskip(NEXT) | instid1(VALU_DEP_1)
	v_dual_add_nc_u32 v34, 1, v18 :: v_dual_cndmask_b32 v29, v18, v29, s3
	v_fma_f32 v18, -v34, v18, v16
	s_delay_alu instid0(VALU_DEP_1) | instskip(NEXT) | instid1(VALU_DEP_1)
	v_cmp_lt_f32_e64 s3, 0, v18
	v_cndmask_b32_e64 v18, v29, v34, s3
	s_delay_alu instid0(VALU_DEP_1) | instskip(NEXT) | instid1(VALU_DEP_1)
	v_mul_f32_e32 v29, 0x37800000, v18
	v_cndmask_b32_e32 v18, v18, v29, vcc_lo
	v_cmp_class_f32_e64 vcc_lo, v16, 0x260
	s_delay_alu instid0(VALU_DEP_2) | instskip(NEXT) | instid1(VALU_DEP_1)
	v_cndmask_b32_e32 v16, v18, v16, vcc_lo
	v_cvt_f64_f32_e32 v[34:35], v16
	s_delay_alu instid0(VALU_DEP_1) | instskip(NEXT) | instid1(VALU_DEP_1)
	v_add_f64_e32 v[34:35], s[16:17], v[34:35]
	v_div_scale_f64 v[36:37], null, v[34:35], v[34:35], v[32:33]
	s_delay_alu instid0(VALU_DEP_1) | instskip(SKIP_1) | instid1(TRANS32_DEP_1)
	v_rcp_f64_e32 v[38:39], v[36:37]
	v_nop
	v_fma_f64 v[40:41], -v[36:37], v[38:39], 1.0
	s_delay_alu instid0(VALU_DEP_1) | instskip(NEXT) | instid1(VALU_DEP_1)
	v_fmac_f64_e32 v[38:39], v[38:39], v[40:41]
	v_fma_f64 v[40:41], -v[36:37], v[38:39], 1.0
	s_delay_alu instid0(VALU_DEP_1) | instskip(SKIP_1) | instid1(VALU_DEP_1)
	v_fmac_f64_e32 v[38:39], v[38:39], v[40:41]
	v_div_scale_f64 v[40:41], vcc_lo, v[32:33], v[34:35], v[32:33]
	v_mul_f64_e32 v[42:43], v[40:41], v[38:39]
	s_delay_alu instid0(VALU_DEP_1) | instskip(NEXT) | instid1(VALU_DEP_1)
	v_fma_f64 v[36:37], -v[36:37], v[42:43], v[40:41]
	v_div_fmas_f64 v[36:37], v[36:37], v[38:39], v[42:43]
	s_delay_alu instid0(VALU_DEP_1) | instskip(NEXT) | instid1(VALU_DEP_1)
	v_div_fixup_f64 v[32:33], v[36:37], v[34:35], v[32:33]
	v_add_f64_e64 v[30:31], v[30:31], -v[32:33]
	s_delay_alu instid0(VALU_DEP_1) | instskip(SKIP_2) | instid1(VALU_DEP_3)
	v_and_or_b32 v16, 0x1ff, v31, v30
	v_lshrrev_b32_e32 v18, 8, v31
	v_bfe_u32 v29, v31, 20, 11
	v_cmp_ne_u32_e32 vcc_lo, 0, v16
	s_delay_alu instid0(VALU_DEP_2) | instskip(SKIP_2) | instid1(VALU_DEP_3)
	v_sub_nc_u32_e32 v30, 0x3f1, v29
	v_add_nc_u32_e32 v29, 0xfffffc10, v29
	v_cndmask_b32_e64 v16, 0, 1, vcc_lo
	v_med3_i32 v30, v30, 0, 13
	s_delay_alu instid0(VALU_DEP_2) | instskip(NEXT) | instid1(VALU_DEP_1)
	v_and_or_b32 v16, 0xffe, v18, v16
	v_or_b32_e32 v18, 0x1000, v16
	s_delay_alu instid0(VALU_DEP_1) | instskip(NEXT) | instid1(VALU_DEP_1)
	v_lshrrev_b32_e32 v32, v30, v18
	v_lshlrev_b32_e32 v30, v30, v32
	s_delay_alu instid0(VALU_DEP_1) | instskip(SKIP_3) | instid1(VALU_DEP_2)
	v_cmp_ne_u32_e32 vcc_lo, v30, v18
	v_lshl_or_b32 v30, v29, 12, v16
	v_cndmask_b32_e64 v18, 0, 1, vcc_lo
	v_cmp_gt_i32_e32 vcc_lo, 1, v29
	v_or_b32_e32 v18, v32, v18
	s_delay_alu instid0(VALU_DEP_1) | instskip(NEXT) | instid1(VALU_DEP_1)
	v_cndmask_b32_e32 v18, v30, v18, vcc_lo
	v_dual_lshrrev_b32 v18, 2, v18 :: v_dual_bitop2_b32 v30, 7, v18 bitop3:0x40
	s_delay_alu instid0(VALU_DEP_1) | instskip(SKIP_4) | instid1(VALU_DEP_2)
	v_cmp_lt_i32_e32 vcc_lo, 5, v30
	v_cndmask_b32_e64 v32, 0, 1, vcc_lo
	v_cmp_eq_u32_e32 vcc_lo, 3, v30
	v_cndmask_b32_e64 v30, 0, 1, vcc_lo
	v_cmp_gt_i32_e32 vcc_lo, 31, v29
	v_or_b32_e32 v30, v30, v32
	s_delay_alu instid0(VALU_DEP_1) | instskip(NEXT) | instid1(VALU_DEP_1)
	v_add_nc_u32_e32 v18, v18, v30
	v_cndmask_b32_e32 v18, 0x7c00, v18, vcc_lo
	v_cmp_ne_u32_e32 vcc_lo, 0, v16
	v_cndmask_b32_e32 v16, 0x7c00, v22, vcc_lo
	v_cmp_eq_u32_e32 vcc_lo, 0x40f, v29
	v_cndmask_b32_e64 v29, v24, -v24, s30
	s_delay_alu instid0(VALU_DEP_3) | instskip(NEXT) | instid1(VALU_DEP_2)
	v_dual_cndmask_b32 v16, v18, v16, vcc_lo :: v_dual_lshrrev_b32 v18, 16, v31
	v_cvt_f64_f32_e32 v[30:31], v29
	s_delay_alu instid0(VALU_DEP_2) | instskip(SKIP_1) | instid1(VALU_DEP_2)
	v_and_or_b32 v16, 0x8000, v18, v16
	v_lshrrev_b32_e32 v18, 16, v19
	v_perm_b32 v16, v27, v16, 0x5040100
	s_delay_alu instid0(VALU_DEP_2) | instskip(NEXT) | instid1(VALU_DEP_1)
	v_cvt_f32_f16_e32 v18, v18
	v_cvt_f64_f32_e32 v[18:19], v18
	s_delay_alu instid0(VALU_DEP_1) | instskip(NEXT) | instid1(VALU_DEP_1)
	v_fmac_f64_e32 v[30:31], s[10:11], v[18:19]
	v_cvt_f32_f64_e32 v30, v[30:31]
	s_delay_alu instid0(VALU_DEP_1) | instskip(NEXT) | instid1(VALU_DEP_1)
	v_cndmask_b32_e64 v30, v29, v30, s2
	v_fma_mix_f32 v29, v30, v30, v17 op_sel:[0,0,1] op_sel_hi:[0,0,1]
	v_cvt_f64_f32_e32 v[30:31], v30
	s_delay_alu instid0(VALU_DEP_2) | instskip(SKIP_1) | instid1(VALU_DEP_1)
	v_cmp_gt_f32_e32 vcc_lo, 0xf800000, v29
	v_mul_f32_e32 v17, 0x4f800000, v29
	v_cndmask_b32_e32 v17, v29, v17, vcc_lo
	s_delay_alu instid0(VALU_DEP_1) | instskip(SKIP_1) | instid1(TRANS32_DEP_1)
	v_sqrt_f32_e32 v32, v17
	v_nop
	v_add_nc_u32_e32 v33, -1, v32
	s_delay_alu instid0(VALU_DEP_1) | instskip(NEXT) | instid1(VALU_DEP_1)
	v_fma_f32 v34, -v33, v32, v17
	v_cmp_ge_f32_e64 s3, 0, v34
	v_dual_mul_f64 v[30:31], v[2:3], v[30:31] :: v_dual_add_nc_u32 v34, 1, v32
	s_delay_alu instid0(VALU_DEP_1) | instskip(NEXT) | instid1(VALU_DEP_1)
	v_dual_cndmask_b32 v33, v32, v33, s3 :: v_dual_fma_f32 v32, -v34, v32, v17
	v_cmp_lt_f32_e64 s3, 0, v32
	s_delay_alu instid0(VALU_DEP_1) | instskip(NEXT) | instid1(VALU_DEP_1)
	v_cndmask_b32_e64 v32, v33, v34, s3
	v_mul_f32_e32 v33, 0x37800000, v32
	s_delay_alu instid0(VALU_DEP_1) | instskip(SKIP_1) | instid1(VALU_DEP_2)
	v_cndmask_b32_e32 v32, v32, v33, vcc_lo
	v_cmp_class_f32_e64 vcc_lo, v17, 0x260
	v_cndmask_b32_e32 v17, v32, v17, vcc_lo
	s_delay_alu instid0(VALU_DEP_1) | instskip(NEXT) | instid1(VALU_DEP_1)
	v_cvt_f64_f32_e32 v[32:33], v17
	v_add_f64_e32 v[32:33], s[16:17], v[32:33]
	s_delay_alu instid0(VALU_DEP_1) | instskip(NEXT) | instid1(VALU_DEP_1)
	v_div_scale_f64 v[34:35], null, v[32:33], v[32:33], v[30:31]
	v_rcp_f64_e32 v[36:37], v[34:35]
	v_nop
	s_delay_alu instid0(TRANS32_DEP_1) | instskip(NEXT) | instid1(VALU_DEP_1)
	v_fma_f64 v[38:39], -v[34:35], v[36:37], 1.0
	v_fmac_f64_e32 v[36:37], v[36:37], v[38:39]
	s_delay_alu instid0(VALU_DEP_1) | instskip(NEXT) | instid1(VALU_DEP_1)
	v_fma_f64 v[38:39], -v[34:35], v[36:37], 1.0
	v_fmac_f64_e32 v[36:37], v[36:37], v[38:39]
	v_div_scale_f64 v[38:39], vcc_lo, v[30:31], v[32:33], v[30:31]
	s_delay_alu instid0(VALU_DEP_1) | instskip(NEXT) | instid1(VALU_DEP_1)
	v_mul_f64_e32 v[40:41], v[38:39], v[36:37]
	v_fma_f64 v[34:35], -v[34:35], v[40:41], v[38:39]
	s_delay_alu instid0(VALU_DEP_1) | instskip(NEXT) | instid1(VALU_DEP_1)
	v_div_fmas_f64 v[34:35], v[34:35], v[36:37], v[40:41]
	v_div_fixup_f64 v[30:31], v[34:35], v[32:33], v[30:31]
	s_delay_alu instid0(VALU_DEP_1) | instskip(NEXT) | instid1(VALU_DEP_1)
	v_add_f64_e64 v[18:19], v[18:19], -v[30:31]
	v_and_or_b32 v17, 0x1ff, v19, v18
	v_lshrrev_b32_e32 v18, 8, v19
	v_bfe_u32 v30, v19, 20, 11
	s_delay_alu instid0(VALU_DEP_3) | instskip(NEXT) | instid1(VALU_DEP_2)
	v_cmp_ne_u32_e32 vcc_lo, 0, v17
	v_sub_nc_u32_e32 v31, 0x3f1, v30
	v_add_nc_u32_e32 v30, 0xfffffc10, v30
	v_cndmask_b32_e64 v17, 0, 1, vcc_lo
	s_delay_alu instid0(VALU_DEP_3) | instskip(NEXT) | instid1(VALU_DEP_2)
	v_med3_i32 v31, v31, 0, 13
	v_and_or_b32 v17, 0xffe, v18, v17
	s_delay_alu instid0(VALU_DEP_1) | instskip(NEXT) | instid1(VALU_DEP_1)
	v_or_b32_e32 v18, 0x1000, v17
	v_lshrrev_b32_e32 v32, v31, v18
	s_delay_alu instid0(VALU_DEP_1) | instskip(NEXT) | instid1(VALU_DEP_1)
	v_lshlrev_b32_e32 v31, v31, v32
	v_cmp_ne_u32_e32 vcc_lo, v31, v18
	v_lshl_or_b32 v31, v30, 12, v17
	v_cndmask_b32_e64 v18, 0, 1, vcc_lo
	v_cmp_gt_i32_e32 vcc_lo, 1, v30
	s_delay_alu instid0(VALU_DEP_2) | instskip(NEXT) | instid1(VALU_DEP_1)
	v_or_b32_e32 v18, v32, v18
	v_cndmask_b32_e32 v18, v31, v18, vcc_lo
	s_delay_alu instid0(VALU_DEP_1) | instskip(NEXT) | instid1(VALU_DEP_1)
	v_dual_lshrrev_b32 v18, 2, v18 :: v_dual_bitop2_b32 v31, 7, v18 bitop3:0x40
	v_cmp_lt_i32_e32 vcc_lo, 5, v31
	v_cndmask_b32_e64 v32, 0, 1, vcc_lo
	v_cmp_eq_u32_e32 vcc_lo, 3, v31
	v_cndmask_b32_e64 v31, 0, 1, vcc_lo
	v_cmp_gt_i32_e32 vcc_lo, 31, v30
	s_delay_alu instid0(VALU_DEP_2) | instskip(NEXT) | instid1(VALU_DEP_1)
	v_or_b32_e32 v31, v31, v32
	v_add_nc_u32_e32 v18, v18, v31
	s_delay_alu instid0(VALU_DEP_1) | instskip(SKIP_3) | instid1(VALU_DEP_2)
	v_cndmask_b32_e32 v18, 0x7c00, v18, vcc_lo
	v_cmp_ne_u32_e32 vcc_lo, 0, v17
	v_cndmask_b32_e32 v17, 0x7c00, v22, vcc_lo
	v_cmp_eq_u32_e32 vcc_lo, 0x40f, v30
	v_dual_cndmask_b32 v17, v18, v17 :: v_dual_lshrrev_b32 v18, 16, v19
	s_and_not1_b32 vcc_lo, exec_lo, s33
	s_delay_alu instid0(VALU_DEP_1) | instskip(NEXT) | instid1(VALU_DEP_1)
	v_and_or_b32 v17, 0x8000, v18, v17
	v_perm_b32 v17, v17, v25, 0x5040100
	s_cbranch_vccnz .LBB2_19
; %bb.18:                               ;   in Loop: Header=BB2_9 Depth=1
	v_cvt_pk_f16_f32 v19, v23, v24
	v_cvt_pk_f16_f32 v18, v1, v20
	global_store_b64 v[12:13], v[16:17], off
	global_store_b64 v[14:15], v[18:19], off
	s_cbranch_execnz .LBB2_8
	s_branch .LBB2_20
.LBB2_19:                               ;   in Loop: Header=BB2_9 Depth=1
.LBB2_20:                               ;   in Loop: Header=BB2_9 Depth=1
	global_store_b64 v[12:13], v[16:17], off
	s_branch .LBB2_8
.LBB2_21:
	s_or_b32 exec_lo, exec_lo, s31
	s_mov_b32 s2, 0
.LBB2_22:
	s_delay_alu instid0(SALU_CYCLE_1)
	s_and_not1_b32 vcc_lo, exec_lo, s2
	s_cbranch_vccnz .LBB2_76
; %bb.23:
	v_cmp_lt_i64_e64 s2, s[18:19], 1
	s_and_b32 vcc_lo, exec_lo, s2
	s_cbranch_vccnz .LBB2_76
; %bb.24:
	s_load_b32 s1, s[0:1], 0xe1c
	v_min_i64 v[4:5], 0x10000, s[18:19]
	v_min_u64 v[6:7], 0x10000, s[18:19]
	s_wait_xcnt 0x0
	v_cmp_neq_f64_e64 s0, s[10:11], 0
	v_dual_mov_b32 v1, 0 :: v_dual_lshlrev_b32 v16, 1, v0
	s_mov_b32 s21, 0
	v_mov_b32_e32 v46, 0x7e00
	s_mov_b32 s19, s21
	s_delay_alu instid0(VALU_DEP_2) | instskip(SKIP_2) | instid1(VALU_DEP_1)
	v_dual_mov_b32 v17, v1 :: v_dual_mov_b32 v37, v1
	s_mov_b32 s3, s21
	s_mov_b32 s25, s21
	v_add_nc_u64_e32 v[8:9], s[14:15], v[16:17]
	v_add_nc_u64_e32 v[10:11], s[4:5], v[16:17]
	v_add_nc_u64_e32 v[12:13], s[6:7], v[16:17]
	s_wait_kmcnt 0x0
	s_and_b32 s20, s1, 0xffff
	s_delay_alu instid0(SALU_CYCLE_1)
	s_lshl_b32 s2, s20, 1
	v_add_nc_u64_e32 v[14:15], s[20:21], v[0:1]
	v_mad_nc_u64_u32 v[24:25], s20, 6, v[16:17]
	s_cmp_lg_u64 s[12:13], 0
	s_mul_i32 s24, s20, 3
	s_cselect_b32 s22, -1, 0
	s_lshl_b32 s18, s20, 2
	v_add_nc_u64_e32 v[18:19], s[2:3], v[0:1]
	v_add_nc_u64_e32 v[30:31], s[18:19], v[16:17]
	v_lshlrev_b32_e32 v36, 1, v14
	v_add_nc_u64_e32 v[16:17], s[24:25], v[0:1]
	s_lshl_b32 s20, s20, 3
	v_add_nc_u64_e32 v[20:21], s[14:15], v[24:25]
	v_add_nc_u64_e32 v[22:23], s[4:5], v[24:25]
	;; [unrolled: 1-line block ×9, first 2 shown]
	s_mov_b64 s[14:15], 0
	s_branch .LBB2_26
.LBB2_25:                               ;   in Loop: Header=BB2_26 Depth=1
	s_wait_xcnt 0x0
	s_or_b32 exec_lo, exec_lo, s1
	s_add_nc_u64 s[14:15], s[14:15], s[18:19]
	v_add_nc_u64_e32 v[8:9], s[20:21], v[8:9]
	v_cmp_ge_i64_e32 vcc_lo, s[14:15], v[4:5]
	v_add_nc_u64_e32 v[10:11], s[20:21], v[10:11]
	v_add_nc_u64_e32 v[12:13], s[20:21], v[12:13]
	;; [unrolled: 1-line block ×11, first 2 shown]
	s_cbranch_vccnz .LBB2_76
.LBB2_26:                               ; =>This Inner Loop Header: Depth=1
	v_add_nc_u64_e32 v[38:39], s[14:15], v[0:1]
	v_mov_b64_e32 v[44:45], 0
	v_mov_b32_e32 v49, 0
	s_delay_alu instid0(VALU_DEP_3)
	v_cmp_lt_u64_e64 s1, v[38:39], v[6:7]
	s_and_saveexec_b32 s2, s1
	s_cbranch_execz .LBB2_28
; %bb.27:                               ;   in Loop: Header=BB2_26 Depth=1
	v_add_nc_u64_e32 v[38:39], s[8:9], v[8:9]
	global_load_u16 v40, v[38:39], off
	s_wait_xcnt 0x0
	v_add_nc_u64_e32 v[38:39], s[8:9], v[10:11]
	global_load_u16 v38, v[38:39], off
	s_wait_loadcnt 0x1
	s_wait_xcnt 0x0
	v_cvt_f32_f16_e32 v39, v40
	s_delay_alu instid0(VALU_DEP_1)
	v_cvt_f64_f32_e32 v[44:45], v39
	s_wait_loadcnt 0x0
	v_cvt_f32_f16_e32 v49, v38
.LBB2_28:                               ;   in Loop: Header=BB2_26 Depth=1
	s_or_b32 exec_lo, exec_lo, s2
	v_dual_mov_b32 v50, 0 :: v_dual_mov_b32 v47, 0
	s_and_saveexec_b32 s2, s1
	s_cbranch_execz .LBB2_30
; %bb.29:                               ;   in Loop: Header=BB2_26 Depth=1
	v_add_nc_u64_e32 v[38:39], s[8:9], v[12:13]
	global_load_u16 v38, v[38:39], off
	s_wait_loadcnt 0x0
	v_cvt_f32_f16_e32 v47, v38
.LBB2_30:                               ;   in Loop: Header=BB2_26 Depth=1
	s_wait_xcnt 0x0
	s_or_b32 exec_lo, exec_lo, s2
	v_add_nc_u64_e32 v[38:39], s[14:15], v[14:15]
	v_mov_b64_e32 v[42:43], 0
	s_delay_alu instid0(VALU_DEP_2)
	v_cmp_lt_u64_e64 s2, v[38:39], v[6:7]
	s_and_saveexec_b32 s3, s2
	s_cbranch_execz .LBB2_32
; %bb.31:                               ;   in Loop: Header=BB2_26 Depth=1
	v_add_nc_u64_e32 v[38:39], s[8:9], v[32:33]
	global_load_u16 v40, v[38:39], off
	s_wait_xcnt 0x0
	v_add_nc_u64_e32 v[38:39], s[8:9], v[34:35]
	global_load_u16 v38, v[38:39], off
	s_wait_loadcnt 0x1
	s_wait_xcnt 0x0
	v_cvt_f32_f16_e32 v39, v40
	s_delay_alu instid0(VALU_DEP_1)
	v_cvt_f64_f32_e32 v[42:43], v39
	s_wait_loadcnt 0x0
	v_cvt_f32_f16_e32 v50, v38
.LBB2_32:                               ;   in Loop: Header=BB2_26 Depth=1
	s_or_b32 exec_lo, exec_lo, s3
	v_dual_mov_b32 v52, 0 :: v_dual_mov_b32 v48, 0
	s_and_saveexec_b32 s3, s2
	s_cbranch_execz .LBB2_34
; %bb.33:                               ;   in Loop: Header=BB2_26 Depth=1
	v_add_nc_u64_e32 v[38:39], s[8:9], v[36:37]
	global_load_u16 v38, v[38:39], off
	s_wait_loadcnt 0x0
	v_cvt_f32_f16_e32 v48, v38
.LBB2_34:                               ;   in Loop: Header=BB2_26 Depth=1
	s_wait_xcnt 0x0
	s_or_b32 exec_lo, exec_lo, s3
	v_add_nc_u64_e32 v[38:39], s[14:15], v[18:19]
	v_mov_b64_e32 v[40:41], 0
	s_delay_alu instid0(VALU_DEP_2)
	v_cmp_lt_u64_e64 s3, v[38:39], v[6:7]
	s_and_saveexec_b32 s4, s3
	s_cbranch_execz .LBB2_36
; %bb.35:                               ;   in Loop: Header=BB2_26 Depth=1
	v_add_nc_u64_e32 v[38:39], s[8:9], v[26:27]
	global_load_u16 v40, v[38:39], off
	s_wait_xcnt 0x0
	v_add_nc_u64_e32 v[38:39], s[8:9], v[28:29]
	global_load_u16 v38, v[38:39], off
	s_wait_loadcnt 0x1
	s_wait_xcnt 0x0
	v_cvt_f32_f16_e32 v39, v40
	s_delay_alu instid0(VALU_DEP_1)
	v_cvt_f64_f32_e32 v[40:41], v39
	s_wait_loadcnt 0x0
	v_cvt_f32_f16_e32 v52, v38
.LBB2_36:                               ;   in Loop: Header=BB2_26 Depth=1
	s_or_b32 exec_lo, exec_lo, s4
	v_dual_mov_b32 v54, 0 :: v_dual_mov_b32 v51, 0
	s_and_saveexec_b32 s4, s3
	s_cbranch_execz .LBB2_38
; %bb.37:                               ;   in Loop: Header=BB2_26 Depth=1
	v_add_nc_u64_e32 v[38:39], s[8:9], v[30:31]
	global_load_u16 v38, v[38:39], off
	s_wait_loadcnt 0x0
	v_cvt_f32_f16_e32 v51, v38
.LBB2_38:                               ;   in Loop: Header=BB2_26 Depth=1
	s_wait_xcnt 0x0
	s_or_b32 exec_lo, exec_lo, s4
	v_add_nc_u64_e32 v[38:39], s[14:15], v[16:17]
	s_delay_alu instid0(VALU_DEP_1)
	v_cmp_lt_u64_e64 s4, v[38:39], v[6:7]
	v_mov_b64_e32 v[38:39], 0
	s_and_saveexec_b32 s5, s4
	s_cbranch_execnz .LBB2_67
; %bb.39:                               ;   in Loop: Header=BB2_26 Depth=1
	s_or_b32 exec_lo, exec_lo, s5
	v_mov_b32_e32 v53, 0
	s_and_saveexec_b32 s5, s4
	s_cbranch_execnz .LBB2_68
.LBB2_40:                               ;   in Loop: Header=BB2_26 Depth=1
	s_or_b32 exec_lo, exec_lo, s5
	s_delay_alu instid0(SALU_CYCLE_1)
	s_and_not1_b32 vcc_lo, exec_lo, s22
	s_cbranch_vccnz .LBB2_42
.LBB2_41:                               ;   in Loop: Header=BB2_26 Depth=1
	global_load_b32 v55, v1, s[12:13]
	s_wait_loadcnt 0x0
	v_div_scale_f32 v56, null, v55, v55, v49
	s_delay_alu instid0(VALU_DEP_1) | instskip(SKIP_1) | instid1(TRANS32_DEP_1)
	v_rcp_f32_e32 v57, v56
	v_nop
	v_fma_f32 v58, -v56, v57, 1.0
	s_delay_alu instid0(VALU_DEP_1) | instskip(SKIP_1) | instid1(VALU_DEP_1)
	v_fmac_f32_e32 v57, v58, v57
	v_div_scale_f32 v58, vcc_lo, v49, v55, v49
	v_mul_f32_e32 v59, v58, v57
	s_delay_alu instid0(VALU_DEP_1) | instskip(NEXT) | instid1(VALU_DEP_1)
	v_fma_f32 v60, -v56, v59, v58
	v_fmac_f32_e32 v59, v60, v57
	s_delay_alu instid0(VALU_DEP_1) | instskip(NEXT) | instid1(VALU_DEP_1)
	v_fma_f32 v56, -v56, v59, v58
	v_div_fmas_f32 v56, v56, v57, v59
	s_delay_alu instid0(VALU_DEP_1)
	v_div_fixup_f32 v49, v56, v55, v49
.LBB2_42:                               ;   in Loop: Header=BB2_26 Depth=1
	s_and_not1_b32 vcc_lo, exec_lo, s22
	s_cbranch_vccnz .LBB2_44
; %bb.43:                               ;   in Loop: Header=BB2_26 Depth=1
	global_load_b32 v55, v1, s[12:13]
	s_wait_loadcnt 0x0
	v_div_scale_f32 v56, null, v55, v55, v50
	s_delay_alu instid0(VALU_DEP_1) | instskip(SKIP_1) | instid1(TRANS32_DEP_1)
	v_rcp_f32_e32 v57, v56
	v_nop
	v_fma_f32 v58, -v56, v57, 1.0
	s_delay_alu instid0(VALU_DEP_1) | instskip(SKIP_1) | instid1(VALU_DEP_1)
	v_fmac_f32_e32 v57, v58, v57
	v_div_scale_f32 v58, vcc_lo, v50, v55, v50
	v_mul_f32_e32 v59, v58, v57
	s_delay_alu instid0(VALU_DEP_1) | instskip(NEXT) | instid1(VALU_DEP_1)
	v_fma_f32 v60, -v56, v59, v58
	v_fmac_f32_e32 v59, v60, v57
	s_delay_alu instid0(VALU_DEP_1) | instskip(NEXT) | instid1(VALU_DEP_1)
	v_fma_f32 v56, -v56, v59, v58
	v_div_fmas_f32 v56, v56, v57, v59
	s_delay_alu instid0(VALU_DEP_1)
	v_div_fixup_f32 v50, v56, v55, v50
.LBB2_44:                               ;   in Loop: Header=BB2_26 Depth=1
	s_and_not1_b32 vcc_lo, exec_lo, s22
	s_cbranch_vccnz .LBB2_46
; %bb.45:                               ;   in Loop: Header=BB2_26 Depth=1
	global_load_b32 v55, v1, s[12:13]
	s_wait_loadcnt 0x0
	v_div_scale_f32 v56, null, v55, v55, v52
	s_delay_alu instid0(VALU_DEP_1) | instskip(SKIP_1) | instid1(TRANS32_DEP_1)
	v_rcp_f32_e32 v57, v56
	v_nop
	v_fma_f32 v58, -v56, v57, 1.0
	s_delay_alu instid0(VALU_DEP_1) | instskip(SKIP_1) | instid1(VALU_DEP_1)
	v_fmac_f32_e32 v57, v58, v57
	v_div_scale_f32 v58, vcc_lo, v52, v55, v52
	v_mul_f32_e32 v59, v58, v57
	s_delay_alu instid0(VALU_DEP_1) | instskip(NEXT) | instid1(VALU_DEP_1)
	v_fma_f32 v60, -v56, v59, v58
	v_fmac_f32_e32 v59, v60, v57
	s_delay_alu instid0(VALU_DEP_1) | instskip(NEXT) | instid1(VALU_DEP_1)
	v_fma_f32 v56, -v56, v59, v58
	v_div_fmas_f32 v56, v56, v57, v59
	s_delay_alu instid0(VALU_DEP_1)
	v_div_fixup_f32 v52, v56, v55, v52
.LBB2_46:                               ;   in Loop: Header=BB2_26 Depth=1
	;; [unrolled: 23-line block ×3, first 2 shown]
	v_cndmask_b32_e64 v55, v49, -v49, s30
	s_delay_alu instid0(VALU_DEP_1) | instskip(NEXT) | instid1(VALU_DEP_1)
	v_cvt_f64_f32_e32 v[56:57], v55
	v_fmac_f64_e32 v[56:57], s[10:11], v[44:45]
	s_delay_alu instid0(VALU_DEP_1) | instskip(NEXT) | instid1(VALU_DEP_1)
	v_cvt_f32_f64_e32 v56, v[56:57]
	v_cndmask_b32_e64 v55, v55, v56, s0
	s_delay_alu instid0(VALU_DEP_1)
	v_fmac_f32_e32 v47, v55, v55
	s_wait_xcnt 0x0
	s_and_saveexec_b32 s7, s1
	s_cbranch_execz .LBB2_50
; %bb.49:                               ;   in Loop: Header=BB2_26 Depth=1
	s_delay_alu instid0(VALU_DEP_1) | instskip(SKIP_1) | instid1(VALU_DEP_2)
	v_mul_f32_e32 v56, 0x4f800000, v47
	v_cmp_gt_f32_e32 vcc_lo, 0xf800000, v47
	v_cndmask_b32_e32 v56, v47, v56, vcc_lo
	s_delay_alu instid0(VALU_DEP_1) | instskip(SKIP_1) | instid1(TRANS32_DEP_1)
	v_sqrt_f32_e32 v57, v56
	v_nop
	v_dual_add_nc_u32 v58, -1, v57 :: v_dual_add_nc_u32 v59, 1, v57
	s_delay_alu instid0(VALU_DEP_1) | instskip(NEXT) | instid1(VALU_DEP_1)
	v_dual_fma_f32 v60, -v58, v57, v56 :: v_dual_fma_f32 v61, -v59, v57, v56
	v_cmp_ge_f32_e64 s5, 0, v60
	s_delay_alu instid0(VALU_DEP_2) | instskip(NEXT) | instid1(VALU_DEP_2)
	v_cmp_lt_f32_e64 s6, 0, v61
	v_cndmask_b32_e64 v57, v57, v58, s5
	v_cmp_class_f32_e64 s5, v56, 0x260
	s_delay_alu instid0(VALU_DEP_2) | instskip(NEXT) | instid1(VALU_DEP_1)
	v_cndmask_b32_e64 v57, v57, v59, s6
	v_mul_f32_e32 v58, 0x37800000, v57
	s_delay_alu instid0(VALU_DEP_1) | instskip(NEXT) | instid1(VALU_DEP_1)
	v_cndmask_b32_e32 v57, v57, v58, vcc_lo
	v_cndmask_b32_e64 v58, v57, v56, s5
	v_cvt_f64_f32_e32 v[56:57], v55
	s_delay_alu instid0(VALU_DEP_2) | instskip(NEXT) | instid1(VALU_DEP_2)
	v_cvt_f64_f32_e32 v[58:59], v58
	v_mul_f64_e32 v[56:57], v[2:3], v[56:57]
	s_delay_alu instid0(VALU_DEP_2) | instskip(NEXT) | instid1(VALU_DEP_1)
	v_add_f64_e32 v[58:59], s[16:17], v[58:59]
	v_div_scale_f64 v[60:61], null, v[58:59], v[58:59], v[56:57]
	v_div_scale_f64 v[66:67], vcc_lo, v[56:57], v[58:59], v[56:57]
	s_delay_alu instid0(VALU_DEP_2) | instskip(SKIP_1) | instid1(TRANS32_DEP_1)
	v_rcp_f64_e32 v[62:63], v[60:61]
	v_nop
	v_fma_f64 v[64:65], -v[60:61], v[62:63], 1.0
	s_delay_alu instid0(VALU_DEP_1) | instskip(NEXT) | instid1(VALU_DEP_1)
	v_fmac_f64_e32 v[62:63], v[62:63], v[64:65]
	v_fma_f64 v[64:65], -v[60:61], v[62:63], 1.0
	s_delay_alu instid0(VALU_DEP_1) | instskip(NEXT) | instid1(VALU_DEP_1)
	v_fmac_f64_e32 v[62:63], v[62:63], v[64:65]
	v_mul_f64_e32 v[64:65], v[66:67], v[62:63]
	s_delay_alu instid0(VALU_DEP_1) | instskip(NEXT) | instid1(VALU_DEP_1)
	v_fma_f64 v[60:61], -v[60:61], v[64:65], v[66:67]
	v_div_fmas_f64 v[60:61], v[60:61], v[62:63], v[64:65]
	s_delay_alu instid0(VALU_DEP_1) | instskip(NEXT) | instid1(VALU_DEP_1)
	v_div_fixup_f64 v[56:57], v[60:61], v[58:59], v[56:57]
	v_add_f64_e64 v[44:45], v[44:45], -v[56:57]
	s_delay_alu instid0(VALU_DEP_1) | instskip(SKIP_1) | instid1(VALU_DEP_2)
	v_and_or_b32 v44, 0x1ff, v45, v44
	v_bfe_u32 v55, v45, 20, 11
	v_cmp_ne_u32_e32 vcc_lo, 0, v44
	v_lshrrev_b32_e32 v44, 8, v45
	s_delay_alu instid0(VALU_DEP_3) | instskip(SKIP_2) | instid1(VALU_DEP_2)
	v_sub_nc_u32_e32 v57, 0x3f1, v55
	v_add_nc_u32_e32 v55, 0xfffffc10, v55
	v_cndmask_b32_e64 v56, 0, 1, vcc_lo
	v_cmp_eq_u32_e64 s6, 0x40f, v55
	s_delay_alu instid0(VALU_DEP_2) | instskip(SKIP_1) | instid1(VALU_DEP_2)
	v_and_or_b32 v44, 0xffe, v44, v56
	v_med3_i32 v56, v57, 0, 13
	v_or_b32_e32 v57, 0x1000, v44
	s_delay_alu instid0(VALU_DEP_1) | instskip(NEXT) | instid1(VALU_DEP_1)
	v_lshrrev_b32_e32 v58, v56, v57
	v_lshlrev_b32_e32 v56, v56, v58
	s_delay_alu instid0(VALU_DEP_1) | instskip(SKIP_3) | instid1(VALU_DEP_2)
	v_cmp_ne_u32_e32 vcc_lo, v56, v57
	v_lshl_or_b32 v57, v55, 12, v44
	v_cndmask_b32_e64 v56, 0, 1, vcc_lo
	v_cmp_gt_i32_e32 vcc_lo, 1, v55
	v_or_b32_e32 v56, v58, v56
	s_delay_alu instid0(VALU_DEP_1) | instskip(NEXT) | instid1(VALU_DEP_1)
	v_cndmask_b32_e32 v56, v57, v56, vcc_lo
	v_and_b32_e32 v57, 7, v56
	s_delay_alu instid0(VALU_DEP_1) | instskip(SKIP_2) | instid1(VALU_DEP_2)
	v_cmp_lt_i32_e32 vcc_lo, 5, v57
	v_cmp_eq_u32_e64 s5, 3, v57
	v_cndmask_b32_e64 v57, 0, 1, vcc_lo
	v_cndmask_b32_e64 v58, 0, 1, s5
	v_lshrrev_b32_e32 v56, 2, v56
	v_cmp_gt_i32_e32 vcc_lo, 31, v55
	v_cmp_ne_u32_e64 s5, 0, v44
	s_delay_alu instid0(VALU_DEP_4) | instskip(NEXT) | instid1(VALU_DEP_2)
	v_or_b32_e32 v57, v58, v57
	v_cndmask_b32_e64 v55, 0x7c00, v46, s5
	s_delay_alu instid0(VALU_DEP_2) | instskip(SKIP_1) | instid1(VALU_DEP_2)
	v_add_nc_u32_e32 v44, v56, v57
	v_lshrrev_b32_e32 v56, 16, v45
	v_cndmask_b32_e32 v44, 0x7c00, v44, vcc_lo
	s_delay_alu instid0(VALU_DEP_1) | instskip(SKIP_1) | instid1(VALU_DEP_2)
	v_cndmask_b32_e64 v55, v44, v55, s6
	v_add_nc_u64_e32 v[44:45], s[8:9], v[8:9]
	v_and_or_b32 v55, 0x8000, v56, v55
	global_store_b16 v[44:45], v55, off
.LBB2_50:                               ;   in Loop: Header=BB2_26 Depth=1
	s_wait_xcnt 0x0
	s_or_b32 exec_lo, exec_lo, s7
	v_cndmask_b32_e64 v55, v50, -v50, s30
	s_delay_alu instid0(VALU_DEP_1) | instskip(NEXT) | instid1(VALU_DEP_1)
	v_cvt_f64_f32_e32 v[44:45], v55
	v_fmac_f64_e32 v[44:45], s[10:11], v[42:43]
	s_delay_alu instid0(VALU_DEP_1) | instskip(NEXT) | instid1(VALU_DEP_1)
	v_cvt_f32_f64_e32 v44, v[44:45]
	v_cndmask_b32_e64 v44, v55, v44, s0
	s_delay_alu instid0(VALU_DEP_1)
	v_fmac_f32_e32 v48, v44, v44
	s_and_saveexec_b32 s6, s2
	s_cbranch_execz .LBB2_52
; %bb.51:                               ;   in Loop: Header=BB2_26 Depth=1
	s_delay_alu instid0(VALU_DEP_1) | instskip(SKIP_1) | instid1(VALU_DEP_2)
	v_mul_f32_e32 v45, 0x4f800000, v48
	v_cmp_gt_f32_e32 vcc_lo, 0xf800000, v48
	v_cndmask_b32_e32 v45, v48, v45, vcc_lo
	s_delay_alu instid0(VALU_DEP_1) | instskip(SKIP_1) | instid1(TRANS32_DEP_1)
	v_sqrt_f32_e32 v55, v45
	v_nop
	v_dual_add_nc_u32 v56, -1, v55 :: v_dual_add_nc_u32 v57, 1, v55
	s_delay_alu instid0(VALU_DEP_1) | instskip(NEXT) | instid1(VALU_DEP_1)
	v_dual_fma_f32 v58, -v56, v55, v45 :: v_dual_fma_f32 v59, -v57, v55, v45
	v_cmp_ge_f32_e64 s5, 0, v58
	s_delay_alu instid0(VALU_DEP_1) | instskip(NEXT) | instid1(VALU_DEP_3)
	v_cndmask_b32_e64 v55, v55, v56, s5
	v_cmp_lt_f32_e64 s5, 0, v59
	s_delay_alu instid0(VALU_DEP_1) | instskip(NEXT) | instid1(VALU_DEP_1)
	v_cndmask_b32_e64 v55, v55, v57, s5
	v_mul_f32_e32 v56, 0x37800000, v55
	s_delay_alu instid0(VALU_DEP_1) | instskip(SKIP_1) | instid1(VALU_DEP_2)
	v_cndmask_b32_e32 v55, v55, v56, vcc_lo
	v_cmp_class_f32_e64 vcc_lo, v45, 0x260
	v_cndmask_b32_e32 v55, v55, v45, vcc_lo
	v_cvt_f64_f32_e32 v[44:45], v44
	s_delay_alu instid0(VALU_DEP_2) | instskip(NEXT) | instid1(VALU_DEP_2)
	v_cvt_f64_f32_e32 v[56:57], v55
	v_mul_f64_e32 v[44:45], v[2:3], v[44:45]
	s_delay_alu instid0(VALU_DEP_2) | instskip(NEXT) | instid1(VALU_DEP_1)
	v_add_f64_e32 v[56:57], s[16:17], v[56:57]
	v_div_scale_f64 v[58:59], null, v[56:57], v[56:57], v[44:45]
	v_div_scale_f64 v[64:65], vcc_lo, v[44:45], v[56:57], v[44:45]
	s_delay_alu instid0(VALU_DEP_2) | instskip(SKIP_1) | instid1(TRANS32_DEP_1)
	v_rcp_f64_e32 v[60:61], v[58:59]
	v_nop
	v_fma_f64 v[62:63], -v[58:59], v[60:61], 1.0
	s_delay_alu instid0(VALU_DEP_1) | instskip(NEXT) | instid1(VALU_DEP_1)
	v_fmac_f64_e32 v[60:61], v[60:61], v[62:63]
	v_fma_f64 v[62:63], -v[58:59], v[60:61], 1.0
	s_delay_alu instid0(VALU_DEP_1) | instskip(NEXT) | instid1(VALU_DEP_1)
	v_fmac_f64_e32 v[60:61], v[60:61], v[62:63]
	v_mul_f64_e32 v[62:63], v[64:65], v[60:61]
	s_delay_alu instid0(VALU_DEP_1) | instskip(NEXT) | instid1(VALU_DEP_1)
	v_fma_f64 v[58:59], -v[58:59], v[62:63], v[64:65]
	v_div_fmas_f64 v[58:59], v[58:59], v[60:61], v[62:63]
	s_delay_alu instid0(VALU_DEP_1) | instskip(NEXT) | instid1(VALU_DEP_1)
	v_div_fixup_f64 v[44:45], v[58:59], v[56:57], v[44:45]
	v_add_f64_e64 v[42:43], v[42:43], -v[44:45]
	s_delay_alu instid0(VALU_DEP_1) | instskip(SKIP_2) | instid1(VALU_DEP_3)
	v_and_or_b32 v42, 0x1ff, v43, v42
	v_lshrrev_b32_e32 v44, 8, v43
	v_bfe_u32 v45, v43, 20, 11
	v_cmp_ne_u32_e32 vcc_lo, 0, v42
	s_delay_alu instid0(VALU_DEP_2) | instskip(SKIP_1) | instid1(VALU_DEP_1)
	v_sub_nc_u32_e32 v55, 0x3f1, v45
	v_cndmask_b32_e64 v42, 0, 1, vcc_lo
	v_and_or_b32 v42, 0xffe, v44, v42
	s_delay_alu instid0(VALU_DEP_3) | instskip(NEXT) | instid1(VALU_DEP_2)
	v_med3_i32 v44, v55, 0, 13
	v_or_b32_e32 v55, 0x1000, v42
	s_delay_alu instid0(VALU_DEP_1) | instskip(NEXT) | instid1(VALU_DEP_1)
	v_lshrrev_b32_e32 v56, v44, v55
	v_lshlrev_b32_e32 v44, v44, v56
	s_delay_alu instid0(VALU_DEP_1) | instskip(SKIP_1) | instid1(VALU_DEP_1)
	v_cmp_ne_u32_e32 vcc_lo, v44, v55
	v_cndmask_b32_e64 v44, 0, 1, vcc_lo
	v_or_b32_e32 v44, v56, v44
	v_add_nc_u32_e32 v45, 0xfffffc10, v45
	s_delay_alu instid0(VALU_DEP_1) | instskip(SKIP_1) | instid1(VALU_DEP_2)
	v_lshl_or_b32 v55, v45, 12, v42
	v_cmp_gt_i32_e32 vcc_lo, 1, v45
	v_cndmask_b32_e32 v44, v55, v44, vcc_lo
	s_delay_alu instid0(VALU_DEP_1) | instskip(NEXT) | instid1(VALU_DEP_1)
	v_dual_lshrrev_b32 v44, 2, v44 :: v_dual_bitop2_b32 v55, 7, v44 bitop3:0x40
	v_cmp_lt_i32_e32 vcc_lo, 5, v55
	v_cndmask_b32_e64 v56, 0, 1, vcc_lo
	v_cmp_eq_u32_e32 vcc_lo, 3, v55
	v_cndmask_b32_e64 v55, 0, 1, vcc_lo
	v_cmp_ne_u32_e32 vcc_lo, 0, v42
	s_delay_alu instid0(VALU_DEP_2) | instskip(SKIP_2) | instid1(VALU_DEP_3)
	v_or_b32_e32 v55, v55, v56
	v_cndmask_b32_e32 v42, 0x7c00, v46, vcc_lo
	v_cmp_gt_i32_e32 vcc_lo, 31, v45
	v_add_nc_u32_e32 v44, v44, v55
	s_delay_alu instid0(VALU_DEP_1) | instskip(SKIP_1) | instid1(VALU_DEP_2)
	v_cndmask_b32_e32 v44, 0x7c00, v44, vcc_lo
	v_cmp_eq_u32_e32 vcc_lo, 0x40f, v45
	v_dual_cndmask_b32 v44, v44, v42 :: v_dual_lshrrev_b32 v45, 16, v43
	v_add_nc_u64_e32 v[42:43], s[8:9], v[32:33]
	s_delay_alu instid0(VALU_DEP_2)
	v_and_or_b32 v44, 0x8000, v45, v44
	global_store_b16 v[42:43], v44, off
.LBB2_52:                               ;   in Loop: Header=BB2_26 Depth=1
	s_wait_xcnt 0x0
	s_or_b32 exec_lo, exec_lo, s6
	v_cndmask_b32_e64 v44, v52, -v52, s30
	s_delay_alu instid0(VALU_DEP_1) | instskip(NEXT) | instid1(VALU_DEP_1)
	v_cvt_f64_f32_e32 v[42:43], v44
	v_fmac_f64_e32 v[42:43], s[10:11], v[40:41]
	s_delay_alu instid0(VALU_DEP_1) | instskip(NEXT) | instid1(VALU_DEP_1)
	v_cvt_f32_f64_e32 v42, v[42:43]
	v_cndmask_b32_e64 v42, v44, v42, s0
	s_delay_alu instid0(VALU_DEP_1)
	v_fmac_f32_e32 v51, v42, v42
	s_and_saveexec_b32 s6, s3
	s_cbranch_execz .LBB2_54
; %bb.53:                               ;   in Loop: Header=BB2_26 Depth=1
	s_delay_alu instid0(VALU_DEP_1) | instskip(SKIP_1) | instid1(VALU_DEP_1)
	v_cmp_gt_f32_e32 vcc_lo, 0xf800000, v51
	v_mul_f32_e32 v43, 0x4f800000, v51
	v_cndmask_b32_e32 v43, v51, v43, vcc_lo
	s_delay_alu instid0(VALU_DEP_1) | instskip(SKIP_1) | instid1(TRANS32_DEP_1)
	v_sqrt_f32_e32 v44, v43
	v_nop
	v_dual_add_nc_u32 v45, -1, v44 :: v_dual_add_nc_u32 v55, 1, v44
	s_delay_alu instid0(VALU_DEP_1) | instskip(NEXT) | instid1(VALU_DEP_1)
	v_fma_f32 v56, -v45, v44, v43
	v_cmp_ge_f32_e64 s5, 0, v56
	s_delay_alu instid0(VALU_DEP_1) | instskip(NEXT) | instid1(VALU_DEP_1)
	v_dual_fma_f32 v57, -v55, v44, v43 :: v_dual_cndmask_b32 v44, v44, v45, s5
	v_cmp_lt_f32_e64 s5, 0, v57
	s_delay_alu instid0(VALU_DEP_1) | instskip(NEXT) | instid1(VALU_DEP_1)
	v_cndmask_b32_e64 v44, v44, v55, s5
	v_mul_f32_e32 v45, 0x37800000, v44
	s_delay_alu instid0(VALU_DEP_1) | instskip(SKIP_1) | instid1(VALU_DEP_2)
	v_cndmask_b32_e32 v44, v44, v45, vcc_lo
	v_cmp_class_f32_e64 vcc_lo, v43, 0x260
	v_cndmask_b32_e32 v44, v44, v43, vcc_lo
	v_cvt_f64_f32_e32 v[42:43], v42
	s_delay_alu instid0(VALU_DEP_2) | instskip(NEXT) | instid1(VALU_DEP_2)
	v_cvt_f64_f32_e32 v[44:45], v44
	v_mul_f64_e32 v[42:43], v[2:3], v[42:43]
	s_delay_alu instid0(VALU_DEP_2) | instskip(NEXT) | instid1(VALU_DEP_1)
	v_add_f64_e32 v[44:45], s[16:17], v[44:45]
	v_div_scale_f64 v[56:57], null, v[44:45], v[44:45], v[42:43]
	v_div_scale_f64 v[62:63], vcc_lo, v[42:43], v[44:45], v[42:43]
	s_delay_alu instid0(VALU_DEP_2) | instskip(SKIP_1) | instid1(TRANS32_DEP_1)
	v_rcp_f64_e32 v[58:59], v[56:57]
	v_nop
	v_fma_f64 v[60:61], -v[56:57], v[58:59], 1.0
	s_delay_alu instid0(VALU_DEP_1) | instskip(NEXT) | instid1(VALU_DEP_1)
	v_fmac_f64_e32 v[58:59], v[58:59], v[60:61]
	v_fma_f64 v[60:61], -v[56:57], v[58:59], 1.0
	s_delay_alu instid0(VALU_DEP_1) | instskip(NEXT) | instid1(VALU_DEP_1)
	v_fmac_f64_e32 v[58:59], v[58:59], v[60:61]
	v_mul_f64_e32 v[60:61], v[62:63], v[58:59]
	s_delay_alu instid0(VALU_DEP_1) | instskip(NEXT) | instid1(VALU_DEP_1)
	v_fma_f64 v[56:57], -v[56:57], v[60:61], v[62:63]
	v_div_fmas_f64 v[56:57], v[56:57], v[58:59], v[60:61]
	s_delay_alu instid0(VALU_DEP_1) | instskip(NEXT) | instid1(VALU_DEP_1)
	v_div_fixup_f64 v[42:43], v[56:57], v[44:45], v[42:43]
	v_add_f64_e64 v[40:41], v[40:41], -v[42:43]
	s_delay_alu instid0(VALU_DEP_1) | instskip(SKIP_2) | instid1(VALU_DEP_3)
	v_and_or_b32 v40, 0x1ff, v41, v40
	v_lshrrev_b32_e32 v42, 8, v41
	v_bfe_u32 v43, v41, 20, 11
	v_cmp_ne_u32_e32 vcc_lo, 0, v40
	s_delay_alu instid0(VALU_DEP_2) | instskip(SKIP_1) | instid1(VALU_DEP_1)
	v_sub_nc_u32_e32 v44, 0x3f1, v43
	v_cndmask_b32_e64 v40, 0, 1, vcc_lo
	v_and_or_b32 v40, 0xffe, v42, v40
	s_delay_alu instid0(VALU_DEP_3) | instskip(NEXT) | instid1(VALU_DEP_2)
	v_med3_i32 v42, v44, 0, 13
	v_or_b32_e32 v44, 0x1000, v40
	s_delay_alu instid0(VALU_DEP_1) | instskip(NEXT) | instid1(VALU_DEP_1)
	v_lshrrev_b32_e32 v45, v42, v44
	v_lshlrev_b32_e32 v42, v42, v45
	s_delay_alu instid0(VALU_DEP_1) | instskip(SKIP_1) | instid1(VALU_DEP_1)
	v_cmp_ne_u32_e32 vcc_lo, v42, v44
	v_cndmask_b32_e64 v42, 0, 1, vcc_lo
	v_or_b32_e32 v42, v45, v42
	v_add_nc_u32_e32 v43, 0xfffffc10, v43
	s_delay_alu instid0(VALU_DEP_1) | instskip(SKIP_1) | instid1(VALU_DEP_2)
	v_lshl_or_b32 v44, v43, 12, v40
	v_cmp_gt_i32_e32 vcc_lo, 1, v43
	v_cndmask_b32_e32 v42, v44, v42, vcc_lo
	s_delay_alu instid0(VALU_DEP_1) | instskip(NEXT) | instid1(VALU_DEP_1)
	v_dual_lshrrev_b32 v42, 2, v42 :: v_dual_bitop2_b32 v44, 7, v42 bitop3:0x40
	v_cmp_lt_i32_e32 vcc_lo, 5, v44
	v_cndmask_b32_e64 v45, 0, 1, vcc_lo
	v_cmp_eq_u32_e32 vcc_lo, 3, v44
	v_cndmask_b32_e64 v44, 0, 1, vcc_lo
	v_cmp_ne_u32_e32 vcc_lo, 0, v40
	s_delay_alu instid0(VALU_DEP_2) | instskip(SKIP_2) | instid1(VALU_DEP_3)
	v_or_b32_e32 v44, v44, v45
	v_cndmask_b32_e32 v40, 0x7c00, v46, vcc_lo
	v_cmp_gt_i32_e32 vcc_lo, 31, v43
	v_add_nc_u32_e32 v42, v42, v44
	s_delay_alu instid0(VALU_DEP_1) | instskip(SKIP_1) | instid1(VALU_DEP_2)
	v_cndmask_b32_e32 v42, 0x7c00, v42, vcc_lo
	v_cmp_eq_u32_e32 vcc_lo, 0x40f, v43
	v_dual_cndmask_b32 v42, v42, v40 :: v_dual_lshrrev_b32 v43, 16, v41
	v_add_nc_u64_e32 v[40:41], s[8:9], v[26:27]
	s_delay_alu instid0(VALU_DEP_2)
	v_and_or_b32 v42, 0x8000, v43, v42
	global_store_b16 v[40:41], v42, off
.LBB2_54:                               ;   in Loop: Header=BB2_26 Depth=1
	s_wait_xcnt 0x0
	s_or_b32 exec_lo, exec_lo, s6
	v_cndmask_b32_e64 v42, v54, -v54, s30
	s_delay_alu instid0(VALU_DEP_1) | instskip(NEXT) | instid1(VALU_DEP_1)
	v_cvt_f64_f32_e32 v[40:41], v42
	v_fmac_f64_e32 v[40:41], s[10:11], v[38:39]
	s_delay_alu instid0(VALU_DEP_1) | instskip(NEXT) | instid1(VALU_DEP_1)
	v_cvt_f32_f64_e32 v40, v[40:41]
	v_cndmask_b32_e64 v40, v42, v40, s0
	s_delay_alu instid0(VALU_DEP_1)
	v_fmac_f32_e32 v53, v40, v40
	s_and_saveexec_b32 s6, s4
	s_cbranch_execz .LBB2_56
; %bb.55:                               ;   in Loop: Header=BB2_26 Depth=1
	s_delay_alu instid0(VALU_DEP_1) | instskip(SKIP_1) | instid1(VALU_DEP_2)
	v_mul_f32_e32 v41, 0x4f800000, v53
	v_cmp_gt_f32_e32 vcc_lo, 0xf800000, v53
	v_cndmask_b32_e32 v41, v53, v41, vcc_lo
	s_delay_alu instid0(VALU_DEP_1) | instskip(SKIP_1) | instid1(TRANS32_DEP_1)
	v_sqrt_f32_e32 v42, v41
	v_nop
	v_dual_add_nc_u32 v43, -1, v42 :: v_dual_add_nc_u32 v44, 1, v42
	s_delay_alu instid0(VALU_DEP_1) | instskip(NEXT) | instid1(VALU_DEP_1)
	v_dual_fma_f32 v45, -v43, v42, v41 :: v_dual_fma_f32 v55, -v44, v42, v41
	v_cmp_ge_f32_e64 s5, 0, v45
	s_delay_alu instid0(VALU_DEP_1) | instskip(NEXT) | instid1(VALU_DEP_3)
	v_cndmask_b32_e64 v42, v42, v43, s5
	v_cmp_lt_f32_e64 s5, 0, v55
	s_delay_alu instid0(VALU_DEP_1) | instskip(NEXT) | instid1(VALU_DEP_1)
	v_cndmask_b32_e64 v42, v42, v44, s5
	v_mul_f32_e32 v43, 0x37800000, v42
	s_delay_alu instid0(VALU_DEP_1) | instskip(SKIP_1) | instid1(VALU_DEP_2)
	v_cndmask_b32_e32 v42, v42, v43, vcc_lo
	v_cmp_class_f32_e64 vcc_lo, v41, 0x260
	v_cndmask_b32_e32 v42, v42, v41, vcc_lo
	v_cvt_f64_f32_e32 v[40:41], v40
	s_delay_alu instid0(VALU_DEP_2) | instskip(NEXT) | instid1(VALU_DEP_2)
	v_cvt_f64_f32_e32 v[42:43], v42
	v_mul_f64_e32 v[40:41], v[2:3], v[40:41]
	s_delay_alu instid0(VALU_DEP_2) | instskip(NEXT) | instid1(VALU_DEP_1)
	v_add_f64_e32 v[42:43], s[16:17], v[42:43]
	v_div_scale_f64 v[44:45], null, v[42:43], v[42:43], v[40:41]
	v_div_scale_f64 v[60:61], vcc_lo, v[40:41], v[42:43], v[40:41]
	s_delay_alu instid0(VALU_DEP_2) | instskip(SKIP_1) | instid1(TRANS32_DEP_1)
	v_rcp_f64_e32 v[56:57], v[44:45]
	v_nop
	v_fma_f64 v[58:59], -v[44:45], v[56:57], 1.0
	s_delay_alu instid0(VALU_DEP_1) | instskip(NEXT) | instid1(VALU_DEP_1)
	v_fmac_f64_e32 v[56:57], v[56:57], v[58:59]
	v_fma_f64 v[58:59], -v[44:45], v[56:57], 1.0
	s_delay_alu instid0(VALU_DEP_1) | instskip(NEXT) | instid1(VALU_DEP_1)
	v_fmac_f64_e32 v[56:57], v[56:57], v[58:59]
	v_mul_f64_e32 v[58:59], v[60:61], v[56:57]
	s_delay_alu instid0(VALU_DEP_1) | instskip(NEXT) | instid1(VALU_DEP_1)
	v_fma_f64 v[44:45], -v[44:45], v[58:59], v[60:61]
	v_div_fmas_f64 v[44:45], v[44:45], v[56:57], v[58:59]
	s_delay_alu instid0(VALU_DEP_1) | instskip(NEXT) | instid1(VALU_DEP_1)
	v_div_fixup_f64 v[40:41], v[44:45], v[42:43], v[40:41]
	v_add_f64_e64 v[38:39], v[38:39], -v[40:41]
	s_delay_alu instid0(VALU_DEP_1) | instskip(SKIP_2) | instid1(VALU_DEP_3)
	v_and_or_b32 v38, 0x1ff, v39, v38
	v_lshrrev_b32_e32 v40, 8, v39
	v_bfe_u32 v41, v39, 20, 11
	v_cmp_ne_u32_e32 vcc_lo, 0, v38
	s_delay_alu instid0(VALU_DEP_2) | instskip(SKIP_1) | instid1(VALU_DEP_1)
	v_sub_nc_u32_e32 v42, 0x3f1, v41
	v_cndmask_b32_e64 v38, 0, 1, vcc_lo
	v_and_or_b32 v38, 0xffe, v40, v38
	s_delay_alu instid0(VALU_DEP_3) | instskip(NEXT) | instid1(VALU_DEP_2)
	v_med3_i32 v40, v42, 0, 13
	v_or_b32_e32 v42, 0x1000, v38
	s_delay_alu instid0(VALU_DEP_1) | instskip(NEXT) | instid1(VALU_DEP_1)
	v_lshrrev_b32_e32 v43, v40, v42
	v_lshlrev_b32_e32 v40, v40, v43
	s_delay_alu instid0(VALU_DEP_1) | instskip(SKIP_1) | instid1(VALU_DEP_1)
	v_cmp_ne_u32_e32 vcc_lo, v40, v42
	v_cndmask_b32_e64 v40, 0, 1, vcc_lo
	v_or_b32_e32 v40, v43, v40
	v_add_nc_u32_e32 v41, 0xfffffc10, v41
	s_delay_alu instid0(VALU_DEP_1) | instskip(SKIP_1) | instid1(VALU_DEP_2)
	v_lshl_or_b32 v42, v41, 12, v38
	v_cmp_gt_i32_e32 vcc_lo, 1, v41
	v_cndmask_b32_e32 v40, v42, v40, vcc_lo
	s_delay_alu instid0(VALU_DEP_1) | instskip(NEXT) | instid1(VALU_DEP_1)
	v_dual_lshrrev_b32 v40, 2, v40 :: v_dual_bitop2_b32 v42, 7, v40 bitop3:0x40
	v_cmp_lt_i32_e32 vcc_lo, 5, v42
	v_cndmask_b32_e64 v43, 0, 1, vcc_lo
	v_cmp_eq_u32_e32 vcc_lo, 3, v42
	v_cndmask_b32_e64 v42, 0, 1, vcc_lo
	v_cmp_ne_u32_e32 vcc_lo, 0, v38
	s_delay_alu instid0(VALU_DEP_2) | instskip(SKIP_2) | instid1(VALU_DEP_3)
	v_or_b32_e32 v42, v42, v43
	v_cndmask_b32_e32 v38, 0x7c00, v46, vcc_lo
	v_cmp_gt_i32_e32 vcc_lo, 31, v41
	v_add_nc_u32_e32 v40, v40, v42
	s_delay_alu instid0(VALU_DEP_1) | instskip(SKIP_1) | instid1(VALU_DEP_2)
	v_cndmask_b32_e32 v40, 0x7c00, v40, vcc_lo
	v_cmp_eq_u32_e32 vcc_lo, 0x40f, v41
	v_dual_cndmask_b32 v40, v40, v38 :: v_dual_lshrrev_b32 v41, 16, v39
	v_add_nc_u64_e32 v[38:39], s[8:9], v[20:21]
	s_delay_alu instid0(VALU_DEP_2)
	v_and_or_b32 v40, 0x8000, v41, v40
	global_store_b16 v[38:39], v40, off
.LBB2_56:                               ;   in Loop: Header=BB2_26 Depth=1
	s_wait_xcnt 0x0
	s_or_b32 exec_lo, exec_lo, s6
	s_delay_alu instid0(SALU_CYCLE_1)
	s_and_not1_b32 vcc_lo, exec_lo, s22
	s_cbranch_vccnz .LBB2_63
; %bb.57:                               ;   in Loop: Header=BB2_26 Depth=1
	s_and_saveexec_b32 s5, s1
	s_cbranch_execnz .LBB2_73
; %bb.58:                               ;   in Loop: Header=BB2_26 Depth=1
	s_or_b32 exec_lo, exec_lo, s5
	s_and_saveexec_b32 s5, s2
	s_cbranch_execnz .LBB2_74
.LBB2_59:                               ;   in Loop: Header=BB2_26 Depth=1
	s_or_b32 exec_lo, exec_lo, s5
	s_and_saveexec_b32 s5, s3
	s_cbranch_execnz .LBB2_75
.LBB2_60:                               ;   in Loop: Header=BB2_26 Depth=1
	s_or_b32 exec_lo, exec_lo, s5
	s_and_saveexec_b32 s5, s4
	s_cbranch_execz .LBB2_62
.LBB2_61:                               ;   in Loop: Header=BB2_26 Depth=1
	v_add_nc_u64_e32 v[38:39], s[8:9], v[22:23]
	v_cvt_f16_f32_e32 v40, v54
	global_store_b16 v[38:39], v40, off
.LBB2_62:                               ;   in Loop: Header=BB2_26 Depth=1
	s_wait_xcnt 0x0
	s_or_b32 exec_lo, exec_lo, s5
.LBB2_63:                               ;   in Loop: Header=BB2_26 Depth=1
	s_and_saveexec_b32 s5, s1
	s_cbranch_execnz .LBB2_69
; %bb.64:                               ;   in Loop: Header=BB2_26 Depth=1
	s_or_b32 exec_lo, exec_lo, s5
	s_and_saveexec_b32 s1, s2
	s_cbranch_execnz .LBB2_70
.LBB2_65:                               ;   in Loop: Header=BB2_26 Depth=1
	s_or_b32 exec_lo, exec_lo, s1
	s_and_saveexec_b32 s1, s3
	s_cbranch_execnz .LBB2_71
.LBB2_66:                               ;   in Loop: Header=BB2_26 Depth=1
	s_or_b32 exec_lo, exec_lo, s1
	s_and_saveexec_b32 s1, s4
	s_cbranch_execz .LBB2_25
	s_branch .LBB2_72
.LBB2_67:                               ;   in Loop: Header=BB2_26 Depth=1
	v_add_nc_u64_e32 v[38:39], s[8:9], v[20:21]
	global_load_u16 v53, v[38:39], off
	s_wait_xcnt 0x0
	v_add_nc_u64_e32 v[38:39], s[8:9], v[22:23]
	global_load_u16 v54, v[38:39], off
	s_wait_loadcnt 0x1
	s_wait_xcnt 0x0
	v_cvt_f32_f16_e32 v38, v53
	s_delay_alu instid0(VALU_DEP_1)
	v_cvt_f64_f32_e32 v[38:39], v38
	s_wait_loadcnt 0x0
	v_cvt_f32_f16_e32 v54, v54
	s_or_b32 exec_lo, exec_lo, s5
	v_mov_b32_e32 v53, 0
	s_and_saveexec_b32 s5, s4
	s_cbranch_execz .LBB2_40
.LBB2_68:                               ;   in Loop: Header=BB2_26 Depth=1
	v_add_nc_u64_e32 v[56:57], s[8:9], v[24:25]
	global_load_u16 v53, v[56:57], off
	s_wait_loadcnt 0x0
	v_cvt_f32_f16_e32 v53, v53
	s_wait_xcnt 0x0
	s_or_b32 exec_lo, exec_lo, s5
	s_delay_alu instid0(SALU_CYCLE_1)
	s_and_not1_b32 vcc_lo, exec_lo, s22
	s_cbranch_vccz .LBB2_41
	s_branch .LBB2_42
.LBB2_69:                               ;   in Loop: Header=BB2_26 Depth=1
	v_add_nc_u64_e32 v[38:39], s[8:9], v[12:13]
	v_cvt_f16_f32_e32 v40, v47
	global_store_b16 v[38:39], v40, off
	s_wait_xcnt 0x0
	s_or_b32 exec_lo, exec_lo, s5
	s_and_saveexec_b32 s1, s2
	s_cbranch_execz .LBB2_65
.LBB2_70:                               ;   in Loop: Header=BB2_26 Depth=1
	v_add_nc_u64_e32 v[38:39], s[8:9], v[36:37]
	v_cvt_f16_f32_e32 v40, v48
	global_store_b16 v[38:39], v40, off
	s_wait_xcnt 0x0
	s_or_b32 exec_lo, exec_lo, s1
	s_and_saveexec_b32 s1, s3
	s_cbranch_execz .LBB2_66
.LBB2_71:                               ;   in Loop: Header=BB2_26 Depth=1
	v_add_nc_u64_e32 v[38:39], s[8:9], v[30:31]
	v_cvt_f16_f32_e32 v40, v51
	global_store_b16 v[38:39], v40, off
	s_wait_xcnt 0x0
	s_or_b32 exec_lo, exec_lo, s1
	s_and_saveexec_b32 s1, s4
	s_cbranch_execz .LBB2_25
.LBB2_72:                               ;   in Loop: Header=BB2_26 Depth=1
	v_add_nc_u64_e32 v[38:39], s[8:9], v[24:25]
	v_cvt_f16_f32_e32 v40, v53
	global_store_b16 v[38:39], v40, off
	s_branch .LBB2_25
.LBB2_73:                               ;   in Loop: Header=BB2_26 Depth=1
	v_add_nc_u64_e32 v[38:39], s[8:9], v[10:11]
	v_cvt_f16_f32_e32 v40, v49
	global_store_b16 v[38:39], v40, off
	s_wait_xcnt 0x0
	s_or_b32 exec_lo, exec_lo, s5
	s_and_saveexec_b32 s5, s2
	s_cbranch_execz .LBB2_59
.LBB2_74:                               ;   in Loop: Header=BB2_26 Depth=1
	v_add_nc_u64_e32 v[38:39], s[8:9], v[34:35]
	v_cvt_f16_f32_e32 v40, v50
	global_store_b16 v[38:39], v40, off
	s_wait_xcnt 0x0
	s_or_b32 exec_lo, exec_lo, s5
	s_and_saveexec_b32 s5, s3
	s_cbranch_execz .LBB2_60
.LBB2_75:                               ;   in Loop: Header=BB2_26 Depth=1
	v_add_nc_u64_e32 v[38:39], s[8:9], v[28:29]
	v_cvt_f16_f32_e32 v40, v52
	global_store_b16 v[38:39], v40, off
	s_wait_xcnt 0x0
	s_or_b32 exec_lo, exec_lo, s5
	s_and_saveexec_b32 s5, s4
	s_cbranch_execnz .LBB2_61
	s_branch .LBB2_62
.LBB2_76:
	s_sendmsg sendmsg(MSG_DEALLOC_VGPRS)
	s_endpgm
	.section	.rodata,"a",@progbits
	.p2align	6, 0x0
	.amdhsa_kernel _ZN2at6native12_GLOBAL__N_125multi_tensor_apply_kernelINS1_32FusedOptimizerTensorListMetadataILi3EEENS1_23FusedAdagradMathFunctorIN3c104HalfEEEJPKfddddbSA_SA_EEEvT_T0_DpT1_
		.amdhsa_group_segment_fixed_size 0
		.amdhsa_private_segment_fixed_size 0
		.amdhsa_kernarg_size 3856
		.amdhsa_user_sgpr_count 2
		.amdhsa_user_sgpr_dispatch_ptr 0
		.amdhsa_user_sgpr_queue_ptr 0
		.amdhsa_user_sgpr_kernarg_segment_ptr 1
		.amdhsa_user_sgpr_dispatch_id 0
		.amdhsa_user_sgpr_kernarg_preload_length 0
		.amdhsa_user_sgpr_kernarg_preload_offset 0
		.amdhsa_user_sgpr_private_segment_size 0
		.amdhsa_wavefront_size32 1
		.amdhsa_uses_dynamic_stack 0
		.amdhsa_enable_private_segment 0
		.amdhsa_system_sgpr_workgroup_id_x 1
		.amdhsa_system_sgpr_workgroup_id_y 0
		.amdhsa_system_sgpr_workgroup_id_z 0
		.amdhsa_system_sgpr_workgroup_info 0
		.amdhsa_system_vgpr_workitem_id 0
		.amdhsa_next_free_vgpr 68
		.amdhsa_next_free_sgpr 35
		.amdhsa_named_barrier_count 0
		.amdhsa_reserve_vcc 1
		.amdhsa_float_round_mode_32 0
		.amdhsa_float_round_mode_16_64 0
		.amdhsa_float_denorm_mode_32 3
		.amdhsa_float_denorm_mode_16_64 3
		.amdhsa_fp16_overflow 0
		.amdhsa_memory_ordered 1
		.amdhsa_forward_progress 1
		.amdhsa_inst_pref_size 62
		.amdhsa_round_robin_scheduling 0
		.amdhsa_exception_fp_ieee_invalid_op 0
		.amdhsa_exception_fp_denorm_src 0
		.amdhsa_exception_fp_ieee_div_zero 0
		.amdhsa_exception_fp_ieee_overflow 0
		.amdhsa_exception_fp_ieee_underflow 0
		.amdhsa_exception_fp_ieee_inexact 0
		.amdhsa_exception_int_div_zero 0
	.end_amdhsa_kernel
	.section	.text._ZN2at6native12_GLOBAL__N_125multi_tensor_apply_kernelINS1_32FusedOptimizerTensorListMetadataILi3EEENS1_23FusedAdagradMathFunctorIN3c104HalfEEEJPKfddddbSA_SA_EEEvT_T0_DpT1_,"axG",@progbits,_ZN2at6native12_GLOBAL__N_125multi_tensor_apply_kernelINS1_32FusedOptimizerTensorListMetadataILi3EEENS1_23FusedAdagradMathFunctorIN3c104HalfEEEJPKfddddbSA_SA_EEEvT_T0_DpT1_,comdat
.Lfunc_end2:
	.size	_ZN2at6native12_GLOBAL__N_125multi_tensor_apply_kernelINS1_32FusedOptimizerTensorListMetadataILi3EEENS1_23FusedAdagradMathFunctorIN3c104HalfEEEJPKfddddbSA_SA_EEEvT_T0_DpT1_, .Lfunc_end2-_ZN2at6native12_GLOBAL__N_125multi_tensor_apply_kernelINS1_32FusedOptimizerTensorListMetadataILi3EEENS1_23FusedAdagradMathFunctorIN3c104HalfEEEJPKfddddbSA_SA_EEEvT_T0_DpT1_
                                        ; -- End function
	.set _ZN2at6native12_GLOBAL__N_125multi_tensor_apply_kernelINS1_32FusedOptimizerTensorListMetadataILi3EEENS1_23FusedAdagradMathFunctorIN3c104HalfEEEJPKfddddbSA_SA_EEEvT_T0_DpT1_.num_vgpr, 68
	.set _ZN2at6native12_GLOBAL__N_125multi_tensor_apply_kernelINS1_32FusedOptimizerTensorListMetadataILi3EEENS1_23FusedAdagradMathFunctorIN3c104HalfEEEJPKfddddbSA_SA_EEEvT_T0_DpT1_.num_agpr, 0
	.set _ZN2at6native12_GLOBAL__N_125multi_tensor_apply_kernelINS1_32FusedOptimizerTensorListMetadataILi3EEENS1_23FusedAdagradMathFunctorIN3c104HalfEEEJPKfddddbSA_SA_EEEvT_T0_DpT1_.numbered_sgpr, 35
	.set _ZN2at6native12_GLOBAL__N_125multi_tensor_apply_kernelINS1_32FusedOptimizerTensorListMetadataILi3EEENS1_23FusedAdagradMathFunctorIN3c104HalfEEEJPKfddddbSA_SA_EEEvT_T0_DpT1_.num_named_barrier, 0
	.set _ZN2at6native12_GLOBAL__N_125multi_tensor_apply_kernelINS1_32FusedOptimizerTensorListMetadataILi3EEENS1_23FusedAdagradMathFunctorIN3c104HalfEEEJPKfddddbSA_SA_EEEvT_T0_DpT1_.private_seg_size, 0
	.set _ZN2at6native12_GLOBAL__N_125multi_tensor_apply_kernelINS1_32FusedOptimizerTensorListMetadataILi3EEENS1_23FusedAdagradMathFunctorIN3c104HalfEEEJPKfddddbSA_SA_EEEvT_T0_DpT1_.uses_vcc, 1
	.set _ZN2at6native12_GLOBAL__N_125multi_tensor_apply_kernelINS1_32FusedOptimizerTensorListMetadataILi3EEENS1_23FusedAdagradMathFunctorIN3c104HalfEEEJPKfddddbSA_SA_EEEvT_T0_DpT1_.uses_flat_scratch, 0
	.set _ZN2at6native12_GLOBAL__N_125multi_tensor_apply_kernelINS1_32FusedOptimizerTensorListMetadataILi3EEENS1_23FusedAdagradMathFunctorIN3c104HalfEEEJPKfddddbSA_SA_EEEvT_T0_DpT1_.has_dyn_sized_stack, 0
	.set _ZN2at6native12_GLOBAL__N_125multi_tensor_apply_kernelINS1_32FusedOptimizerTensorListMetadataILi3EEENS1_23FusedAdagradMathFunctorIN3c104HalfEEEJPKfddddbSA_SA_EEEvT_T0_DpT1_.has_recursion, 0
	.set _ZN2at6native12_GLOBAL__N_125multi_tensor_apply_kernelINS1_32FusedOptimizerTensorListMetadataILi3EEENS1_23FusedAdagradMathFunctorIN3c104HalfEEEJPKfddddbSA_SA_EEEvT_T0_DpT1_.has_indirect_call, 0
	.section	.AMDGPU.csdata,"",@progbits
; Kernel info:
; codeLenInByte = 7872
; TotalNumSgprs: 37
; NumVgprs: 68
; ScratchSize: 0
; MemoryBound: 0
; FloatMode: 240
; IeeeMode: 1
; LDSByteSize: 0 bytes/workgroup (compile time only)
; SGPRBlocks: 0
; VGPRBlocks: 4
; NumSGPRsForWavesPerEU: 37
; NumVGPRsForWavesPerEU: 68
; NamedBarCnt: 0
; Occupancy: 12
; WaveLimiterHint : 0
; COMPUTE_PGM_RSRC2:SCRATCH_EN: 0
; COMPUTE_PGM_RSRC2:USER_SGPR: 2
; COMPUTE_PGM_RSRC2:TRAP_HANDLER: 0
; COMPUTE_PGM_RSRC2:TGID_X_EN: 1
; COMPUTE_PGM_RSRC2:TGID_Y_EN: 0
; COMPUTE_PGM_RSRC2:TGID_Z_EN: 0
; COMPUTE_PGM_RSRC2:TIDIG_COMP_CNT: 0
	.section	.text._ZN2at6native12_GLOBAL__N_125multi_tensor_apply_kernelINS1_32FusedOptimizerTensorListMetadataILi3EEENS1_23FusedAdagradMathFunctorIN3c108BFloat16EEEJPKfddddbSA_SA_EEEvT_T0_DpT1_,"axG",@progbits,_ZN2at6native12_GLOBAL__N_125multi_tensor_apply_kernelINS1_32FusedOptimizerTensorListMetadataILi3EEENS1_23FusedAdagradMathFunctorIN3c108BFloat16EEEJPKfddddbSA_SA_EEEvT_T0_DpT1_,comdat
	.globl	_ZN2at6native12_GLOBAL__N_125multi_tensor_apply_kernelINS1_32FusedOptimizerTensorListMetadataILi3EEENS1_23FusedAdagradMathFunctorIN3c108BFloat16EEEJPKfddddbSA_SA_EEEvT_T0_DpT1_ ; -- Begin function _ZN2at6native12_GLOBAL__N_125multi_tensor_apply_kernelINS1_32FusedOptimizerTensorListMetadataILi3EEENS1_23FusedAdagradMathFunctorIN3c108BFloat16EEEJPKfddddbSA_SA_EEEvT_T0_DpT1_
	.p2align	8
	.type	_ZN2at6native12_GLOBAL__N_125multi_tensor_apply_kernelINS1_32FusedOptimizerTensorListMetadataILi3EEENS1_23FusedAdagradMathFunctorIN3c108BFloat16EEEJPKfddddbSA_SA_EEEvT_T0_DpT1_,@function
_ZN2at6native12_GLOBAL__N_125multi_tensor_apply_kernelINS1_32FusedOptimizerTensorListMetadataILi3EEENS1_23FusedAdagradMathFunctorIN3c108BFloat16EEEJPKfddddbSA_SA_EEEvT_T0_DpT1_: ; @_ZN2at6native12_GLOBAL__N_125multi_tensor_apply_kernelINS1_32FusedOptimizerTensorListMetadataILi3EEENS1_23FusedAdagradMathFunctorIN3c108BFloat16EEEJPKfddddbSA_SA_EEEvT_T0_DpT1_
; %bb.0:
	s_bfe_u32 s2, ttmp6, 0x4000c
	s_and_b32 s3, ttmp6, 15
	s_add_co_i32 s2, s2, 1
	s_getreg_b32 s4, hwreg(HW_REG_IB_STS2, 6, 4)
	s_mul_i32 s2, ttmp9, s2
	s_delay_alu instid0(SALU_CYCLE_1)
	s_add_co_i32 s3, s3, s2
	s_cmp_eq_u32 s4, 0
	s_load_b256 s[4:11], s[0:1], 0xdd0
	s_cselect_b32 s2, ttmp9, s3
	s_mov_b32 s3, 0
	v_mov_b32_e32 v1, s2
	global_load_u8 v1, v1, s[0:1] offset:1920
	s_wait_kmcnt 0x0
	v_mov_b64_e32 v[2:3], s[6:7]
	s_cmp_eq_u64 s[4:5], 0
	s_wait_loadcnt 0x0
	v_readfirstlane_b32 s19, v1
	s_cbranch_scc1 .LBB3_2
; %bb.1:
	s_load_b32 s4, s[4:5], 0x0
	s_wait_kmcnt 0x0
	v_cvt_f64_f32_e32 v[2:3], s4
.LBB3_2:
	s_load_b128 s[12:15], s[0:1], 0xe00
	s_wait_kmcnt 0x0
	s_cmp_eq_u64 s[14:15], 0
	s_cselect_b32 s4, -1, 0
	s_delay_alu instid0(SALU_CYCLE_1)
	s_and_b32 vcc_lo, exec_lo, s4
	s_cbranch_vccnz .LBB3_4
; %bb.3:
	s_load_b32 s4, s[14:15], 0x0
	s_wait_kmcnt 0x0
	s_cmp_neq_f32 s4, 1.0
	s_cselect_b32 s4, -1, 0
.LBB3_4:
	s_delay_alu instid0(SALU_CYCLE_1)
	s_and_not1_b32 vcc_lo, exec_lo, s4
	s_cbranch_vccnz .LBB3_90
; %bb.5:
	s_load_b96 s[16:18], s[0:1], 0xdf0
	s_wait_kmcnt 0x0
	s_bitcmp1_b32 s18, 0
	s_cselect_b32 s24, -1, 0
	s_and_b32 s19, s19, 0xff
	s_load_b64 s[4:5], s[0:1], s19 offset:0x600 scale_offset
	s_wait_kmcnt 0x0
	s_load_b32 s4, s[4:5], 0x0
	s_wait_kmcnt 0x0
	s_add_f32 s4, s4, -1.0
	s_delay_alu instid0(SALU_CYCLE_3) | instskip(SKIP_2) | instid1(SALU_CYCLE_1)
	v_cvt_f64_f32_e32 v[4:5], s4
	s_add_nc_u64 s[4:5], s[0:1], s[2:3]
	s_mul_u64 s[2:3], s[2:3], 3
	s_add_nc_u64 s[2:3], s[4:5], s[2:3]
	s_clause 0x4
	s_load_b32 s18, s[2:3], 0x8c0
	s_load_b64 s[4:5], s[0:1], s19 offset:0x180 scale_offset
	s_load_b64 s[6:7], s[0:1], s19 offset:0x300 scale_offset
	;; [unrolled: 1-line block ×4, first 2 shown]
	s_wait_kmcnt 0x0
	s_ashr_i32 s19, s18, 31
	s_delay_alu instid0(VALU_DEP_1) | instskip(SKIP_1) | instid1(SALU_CYCLE_1)
	v_fma_f64 v[4:5], s[8:9], v[4:5], 1.0
	s_lshl_b64 s[8:9], s[18:19], 17
	s_add_nc_u64 s[2:3], s[4:5], s[8:9]
	s_delay_alu instid0(SALU_CYCLE_1)
	s_or_b32 s22, s6, s2
	s_lshl_b64 s[2:3], s[18:19], 16
	s_and_b32 s22, s22, 7
	s_and_b64 s[18:19], s[14:15], 7
	s_cmp_lg_u32 s22, 0
	s_cselect_b32 s25, -1, 0
	s_and_b64 s[22:23], s[20:21], 3
	s_delay_alu instid0(SALU_CYCLE_1) | instskip(NEXT) | instid1(SALU_CYCLE_1)
	s_or_b64 s[18:19], s[18:19], s[22:23]
	s_cmp_lg_u64 s[18:19], 0
	s_cselect_b32 s18, -1, 0
	s_delay_alu instid0(SALU_CYCLE_1) | instskip(SKIP_2) | instid1(VALU_DEP_1)
	s_or_b32 s22, s25, s18
	s_sub_nc_u64 s[18:19], s[20:21], s[2:3]
	s_mov_b32 s2, -1
	v_div_scale_f64 v[6:7], null, v[4:5], v[4:5], v[2:3]
	s_delay_alu instid0(VALU_DEP_1) | instskip(SKIP_1) | instid1(TRANS32_DEP_1)
	v_rcp_f64_e32 v[8:9], v[6:7]
	v_nop
	v_fma_f64 v[10:11], -v[6:7], v[8:9], 1.0
	s_delay_alu instid0(VALU_DEP_1) | instskip(NEXT) | instid1(VALU_DEP_1)
	v_fmac_f64_e32 v[8:9], v[8:9], v[10:11]
	v_fma_f64 v[10:11], -v[6:7], v[8:9], 1.0
	s_delay_alu instid0(VALU_DEP_1) | instskip(SKIP_1) | instid1(VALU_DEP_1)
	v_fmac_f64_e32 v[8:9], v[8:9], v[10:11]
	v_div_scale_f64 v[10:11], vcc_lo, v[2:3], v[4:5], v[2:3]
	v_mul_f64_e32 v[12:13], v[10:11], v[8:9]
	s_delay_alu instid0(VALU_DEP_1) | instskip(NEXT) | instid1(VALU_DEP_1)
	v_fma_f64 v[6:7], -v[6:7], v[12:13], v[10:11]
	v_div_fmas_f64 v[6:7], v[6:7], v[8:9], v[12:13]
	s_and_not1_b32 vcc_lo, exec_lo, s22
	s_delay_alu instid0(VALU_DEP_1)
	v_div_fixup_f64 v[2:3], v[6:7], v[4:5], v[2:3]
	s_cbranch_vccz .LBB3_28
; %bb.6:
	v_min_i64 v[4:5], 0x10000, s[18:19]
	v_dual_mov_b32 v7, 0 :: v_dual_lshlrev_b32 v6, 2, v0
	s_mov_b32 s25, exec_lo
	s_delay_alu instid0(VALU_DEP_1)
	v_cmpx_lt_i64_e64 v[6:7], v[4:5]
	s_cbranch_execz .LBB3_27
; %bb.7:
	v_cmp_neq_f64_e64 s2, s[10:11], 0
	s_load_b32 s3, s[0:1], 0xe1c
	v_dual_mov_b32 v1, v7 :: v_dual_lshlrev_b32 v6, 3, v0
	s_cmp_lg_u64 s[12:13], 0
	s_mov_b32 s21, 0
	s_cselect_b32 s26, -1, 0
	s_delay_alu instid0(VALU_DEP_1)
	v_add_nc_u64_e32 v[8:9], s[8:9], v[6:7]
	v_mov_b64_e32 v[10:11], v[0:1]
	s_mov_b32 s23, s21
	s_mov_b32 s27, s21
	s_wait_kmcnt 0x0
	s_and_b32 s20, s3, 0xffff
	s_delay_alu instid0(SALU_CYCLE_1)
	s_lshl_b32 s22, s20, 3
	s_branch .LBB3_9
.LBB3_8:                                ;   in Loop: Header=BB3_9 Depth=1
	s_wait_xcnt 0x0
	v_bfe_u32 v14, v1, 16, 1
	v_bfe_u32 v15, v6, 16, 1
	;; [unrolled: 1-line block ×3, first 2 shown]
	v_cmp_o_f32_e32 vcc_lo, v1, v1
	v_bfe_u32 v17, v21, 16, 1
	v_add3_u32 v14, v1, v14, 0x7fff
	v_add3_u32 v15, v6, v15, 0x7fff
	v_add3_u32 v16, v20, v16, 0x7fff
	v_add_nc_u64_e32 v[10:11], s[20:21], v[10:11]
	v_add3_u32 v17, v21, v17, 0x7fff
	v_lshrrev_b32_e32 v14, 16, v14
	v_and_b32_e32 v15, 0xffff0000, v15
	v_lshrrev_b32_e32 v16, 16, v16
	v_add_nc_u64_e32 v[8:9], s[22:23], v[8:9]
	v_and_b32_e32 v17, 0xffff0000, v17
	v_cndmask_b32_e32 v1, 0x7fc0, v14, vcc_lo
	v_cmp_o_f32_e32 vcc_lo, v6, v6
	v_cndmask_b32_e32 v6, 0x7fc00000, v15, vcc_lo
	v_cmp_o_f32_e32 vcc_lo, v20, v20
	v_lshlrev_b64_e32 v[14:15], 2, v[10:11]
	s_delay_alu instid0(VALU_DEP_3)
	v_or_b32_e32 v1, v6, v1
	v_cndmask_b32_e32 v16, 0x7fc0, v16, vcc_lo
	v_cmp_o_f32_e32 vcc_lo, v21, v21
	v_cndmask_b32_e32 v17, 0x7fc00000, v17, vcc_lo
	v_cmp_ge_i64_e32 vcc_lo, v[14:15], v[4:5]
	v_or3_b32 v14, v1, 0, 0
	s_delay_alu instid0(VALU_DEP_3)
	v_or3_b32 v15, 0, v16, v17
	s_or_b32 s27, vcc_lo, s27
	global_store_b64 v[12:13], v[14:15], off
	s_wait_xcnt 0x0
	s_and_not1_b32 exec_lo, exec_lo, s27
	s_cbranch_execz .LBB3_27
.LBB3_9:                                ; =>This Inner Loop Header: Depth=1
	v_add_nc_u64_e32 v[14:15], s[4:5], v[8:9]
	v_add_nc_u64_e32 v[18:19], s[14:15], v[8:9]
	;; [unrolled: 1-line block ×3, first 2 shown]
	s_and_not1_b32 vcc_lo, exec_lo, s26
	global_load_b64 v[16:17], v[14:15], off
	global_load_b64 v[22:23], v[18:19], off
	;; [unrolled: 1-line block ×3, first 2 shown]
	s_wait_loadcnt 0x2
	v_lshlrev_b32_e32 v1, 16, v16
	s_cbranch_vccnz .LBB3_11
; %bb.10:                               ;   in Loop: Header=BB3_9 Depth=1
	global_load_b32 v6, v7, s[12:13]
	s_wait_loadcnt 0x0
	v_div_scale_f32 v24, null, v6, v6, v1
	s_delay_alu instid0(VALU_DEP_1) | instskip(SKIP_1) | instid1(TRANS32_DEP_1)
	v_rcp_f32_e32 v25, v24
	v_nop
	v_fma_f32 v26, -v24, v25, 1.0
	s_delay_alu instid0(VALU_DEP_1) | instskip(SKIP_1) | instid1(VALU_DEP_1)
	v_fmac_f32_e32 v25, v26, v25
	v_div_scale_f32 v26, vcc_lo, v1, v6, v1
	v_mul_f32_e32 v27, v26, v25
	s_delay_alu instid0(VALU_DEP_1) | instskip(NEXT) | instid1(VALU_DEP_1)
	v_fma_f32 v28, -v24, v27, v26
	v_fmac_f32_e32 v27, v28, v25
	s_delay_alu instid0(VALU_DEP_1) | instskip(NEXT) | instid1(VALU_DEP_1)
	v_fma_f32 v24, -v24, v27, v26
	v_div_fmas_f32 v24, v24, v25, v27
	s_delay_alu instid0(VALU_DEP_1)
	v_div_fixup_f32 v1, v24, v6, v1
.LBB3_11:                               ;   in Loop: Header=BB3_9 Depth=1
	s_and_not1_b32 vcc_lo, exec_lo, s26
	s_cbranch_vccnz .LBB3_13
; %bb.12:                               ;   in Loop: Header=BB3_9 Depth=1
	s_delay_alu instid0(VALU_DEP_1) | instskip(SKIP_2) | instid1(VALU_DEP_3)
	v_bfe_u32 v6, v1, 16, 1
	v_cmp_o_f32_e32 vcc_lo, v1, v1
	v_and_b32_e32 v16, 0xffff0000, v16
	v_add3_u32 v6, v1, v6, 0x7fff
	s_delay_alu instid0(VALU_DEP_1) | instskip(NEXT) | instid1(VALU_DEP_1)
	v_lshrrev_b32_e32 v6, 16, v6
	v_cndmask_b32_e32 v6, 0x7fc0, v6, vcc_lo
	s_delay_alu instid0(VALU_DEP_1)
	v_or_b32_e32 v16, v6, v16
.LBB3_13:                               ;   in Loop: Header=BB3_9 Depth=1
	s_delay_alu instid0(VALU_DEP_1)
	v_and_b32_e32 v6, 0xffff0000, v16
	s_and_not1_b32 vcc_lo, exec_lo, s26
	s_cbranch_vccnz .LBB3_15
; %bb.14:                               ;   in Loop: Header=BB3_9 Depth=1
	global_load_b32 v24, v7, s[12:13]
	s_wait_loadcnt 0x0
	v_div_scale_f32 v25, null, v24, v24, v6
	s_delay_alu instid0(VALU_DEP_1) | instskip(SKIP_1) | instid1(TRANS32_DEP_1)
	v_rcp_f32_e32 v26, v25
	v_nop
	v_fma_f32 v27, -v25, v26, 1.0
	s_delay_alu instid0(VALU_DEP_1) | instskip(SKIP_1) | instid1(VALU_DEP_1)
	v_fmac_f32_e32 v26, v27, v26
	v_div_scale_f32 v27, vcc_lo, v6, v24, v6
	v_mul_f32_e32 v28, v27, v26
	s_delay_alu instid0(VALU_DEP_1) | instskip(NEXT) | instid1(VALU_DEP_1)
	v_fma_f32 v29, -v25, v28, v27
	v_fmac_f32_e32 v28, v29, v26
	s_delay_alu instid0(VALU_DEP_1) | instskip(NEXT) | instid1(VALU_DEP_1)
	v_fma_f32 v25, -v25, v28, v27
	v_div_fmas_f32 v25, v25, v26, v28
	s_delay_alu instid0(VALU_DEP_1)
	v_div_fixup_f32 v6, v25, v24, v6
.LBB3_15:                               ;   in Loop: Header=BB3_9 Depth=1
	s_and_not1_b32 vcc_lo, exec_lo, s26
	s_cbranch_vccnz .LBB3_17
; %bb.16:                               ;   in Loop: Header=BB3_9 Depth=1
	s_delay_alu instid0(VALU_DEP_1) | instskip(SKIP_2) | instid1(VALU_DEP_3)
	v_bfe_u32 v24, v6, 16, 1
	v_cmp_o_f32_e32 vcc_lo, v6, v6
	v_and_b32_e32 v16, 0xffff, v16
	v_add3_u32 v24, v6, v24, 0x7fff
	s_delay_alu instid0(VALU_DEP_1) | instskip(NEXT) | instid1(VALU_DEP_1)
	v_and_b32_e32 v24, 0xffff0000, v24
	v_cndmask_b32_e32 v24, 0x7fc00000, v24, vcc_lo
	s_delay_alu instid0(VALU_DEP_1)
	v_or_b32_e32 v16, v24, v16
.LBB3_17:                               ;   in Loop: Header=BB3_9 Depth=1
	s_delay_alu instid0(VALU_DEP_1) | instskip(SKIP_1) | instid1(VALU_DEP_1)
	v_alignbit_b32 v24, v17, v16, 16
	s_and_not1_b32 vcc_lo, exec_lo, s26
	v_and_b32_e32 v24, 0xffff0000, v24
	s_cbranch_vccnz .LBB3_19
; %bb.18:                               ;   in Loop: Header=BB3_9 Depth=1
	global_load_b32 v25, v7, s[12:13]
	s_wait_loadcnt 0x0
	v_div_scale_f32 v26, null, v25, v25, v24
	s_delay_alu instid0(VALU_DEP_1) | instskip(SKIP_1) | instid1(TRANS32_DEP_1)
	v_rcp_f32_e32 v27, v26
	v_nop
	v_fma_f32 v28, -v26, v27, 1.0
	s_delay_alu instid0(VALU_DEP_1) | instskip(SKIP_1) | instid1(VALU_DEP_1)
	v_fmac_f32_e32 v27, v28, v27
	v_div_scale_f32 v28, vcc_lo, v24, v25, v24
	v_mul_f32_e32 v29, v28, v27
	s_delay_alu instid0(VALU_DEP_1) | instskip(NEXT) | instid1(VALU_DEP_1)
	v_fma_f32 v30, -v26, v29, v28
	v_fmac_f32_e32 v29, v30, v27
	s_delay_alu instid0(VALU_DEP_1) | instskip(NEXT) | instid1(VALU_DEP_1)
	v_fma_f32 v26, -v26, v29, v28
	v_div_fmas_f32 v26, v26, v27, v29
	s_delay_alu instid0(VALU_DEP_1)
	v_div_fixup_f32 v24, v26, v25, v24
.LBB3_19:                               ;   in Loop: Header=BB3_9 Depth=1
	s_and_not1_b32 vcc_lo, exec_lo, s26
	s_cbranch_vccnz .LBB3_21
; %bb.20:                               ;   in Loop: Header=BB3_9 Depth=1
	s_delay_alu instid0(VALU_DEP_1) | instskip(SKIP_2) | instid1(VALU_DEP_3)
	v_bfe_u32 v25, v24, 16, 1
	v_cmp_o_f32_e32 vcc_lo, v24, v24
	v_and_b32_e32 v17, 0xffff0000, v17
	v_add3_u32 v25, v24, v25, 0x7fff
	s_delay_alu instid0(VALU_DEP_1) | instskip(NEXT) | instid1(VALU_DEP_1)
	v_lshrrev_b32_e32 v25, 16, v25
	v_cndmask_b32_e32 v25, 0x7fc0, v25, vcc_lo
	s_delay_alu instid0(VALU_DEP_1)
	v_or_b32_e32 v17, v25, v17
.LBB3_21:                               ;   in Loop: Header=BB3_9 Depth=1
	s_delay_alu instid0(VALU_DEP_1)
	v_and_b32_e32 v26, 0xffff0000, v17
	s_and_not1_b32 vcc_lo, exec_lo, s26
	s_cbranch_vccnz .LBB3_23
; %bb.22:                               ;   in Loop: Header=BB3_9 Depth=1
	global_load_b32 v25, v7, s[12:13]
	s_wait_loadcnt 0x0
	v_div_scale_f32 v27, null, v25, v25, v26
	s_delay_alu instid0(VALU_DEP_1) | instskip(SKIP_1) | instid1(TRANS32_DEP_1)
	v_rcp_f32_e32 v28, v27
	v_nop
	v_fma_f32 v29, -v27, v28, 1.0
	s_delay_alu instid0(VALU_DEP_1) | instskip(SKIP_1) | instid1(VALU_DEP_1)
	v_fmac_f32_e32 v28, v29, v28
	v_div_scale_f32 v29, vcc_lo, v26, v25, v26
	v_mul_f32_e32 v30, v29, v28
	s_delay_alu instid0(VALU_DEP_1) | instskip(NEXT) | instid1(VALU_DEP_1)
	v_fma_f32 v31, -v27, v30, v29
	v_fmac_f32_e32 v30, v31, v28
	s_delay_alu instid0(VALU_DEP_1) | instskip(NEXT) | instid1(VALU_DEP_1)
	v_fma_f32 v27, -v27, v30, v29
	v_div_fmas_f32 v27, v27, v28, v30
	s_delay_alu instid0(VALU_DEP_1)
	v_div_fixup_f32 v26, v27, v25, v26
.LBB3_23:                               ;   in Loop: Header=BB3_9 Depth=1
	s_and_not1_b32 vcc_lo, exec_lo, s26
	s_cbranch_vccnz .LBB3_25
; %bb.24:                               ;   in Loop: Header=BB3_9 Depth=1
	s_delay_alu instid0(VALU_DEP_1) | instskip(SKIP_2) | instid1(VALU_DEP_3)
	v_bfe_u32 v25, v26, 16, 1
	v_cmp_o_f32_e32 vcc_lo, v26, v26
	v_and_b32_e32 v17, 0xffff, v17
	v_add3_u32 v25, v26, v25, 0x7fff
	s_delay_alu instid0(VALU_DEP_1) | instskip(NEXT) | instid1(VALU_DEP_1)
	v_and_b32_e32 v25, 0xffff0000, v25
	v_cndmask_b32_e32 v25, 0x7fc00000, v25, vcc_lo
	s_delay_alu instid0(VALU_DEP_1)
	v_or_b32_e32 v17, v25, v17
.LBB3_25:                               ;   in Loop: Header=BB3_9 Depth=1
	s_wait_loadcnt 0x1
	v_dual_lshlrev_b32 v25, 16, v22 :: v_dual_cndmask_b32 v1, v1, -v1, s24
	v_and_b32_e32 v44, 0xffff0000, v23
	v_dual_cndmask_b32 v6, v6, -v6, s24 :: v_dual_cndmask_b32 v34, v24, -v24, s24
	s_delay_alu instid0(VALU_DEP_3) | instskip(NEXT) | instid1(VALU_DEP_4)
	v_cvt_f64_f32_e32 v[28:29], v25
	v_cvt_f64_f32_e32 v[30:31], v1
	s_delay_alu instid0(VALU_DEP_3) | instskip(NEXT) | instid1(VALU_DEP_2)
	v_cvt_f64_f32_e32 v[32:33], v6
	v_fmac_f64_e32 v[30:31], s[10:11], v[28:29]
	s_delay_alu instid0(VALU_DEP_1) | instskip(NEXT) | instid1(VALU_DEP_1)
	v_cvt_f32_f64_e32 v25, v[30:31]
	v_cndmask_b32_e64 v27, v1, v25, s2
	v_and_b32_e32 v25, 0xffff0000, v22
	v_alignbit_b32 v22, v23, v22, 16
	s_wait_loadcnt 0x0
	s_delay_alu instid0(VALU_DEP_3) | instskip(NEXT) | instid1(VALU_DEP_3)
	v_fma_mix_f32_bf16 v1, v27, v27, v20 op_sel_hi:[0,0,1]
	v_cvt_f64_f32_e32 v[30:31], v25
	s_delay_alu instid0(VALU_DEP_3) | instskip(NEXT) | instid1(VALU_DEP_3)
	v_and_b32_e32 v22, 0xffff0000, v22
	v_cmp_gt_f32_e32 vcc_lo, 0xf800000, v1
	s_delay_alu instid0(VALU_DEP_3) | instskip(NEXT) | instid1(VALU_DEP_1)
	v_fmac_f64_e32 v[32:33], s[10:11], v[30:31]
	v_cvt_f32_f64_e32 v25, v[32:33]
	s_delay_alu instid0(VALU_DEP_4) | instskip(NEXT) | instid1(VALU_DEP_2)
	v_cvt_f64_f32_e32 v[32:33], v22
	v_cndmask_b32_e64 v42, v6, v25, s2
	v_cvt_f64_f32_e32 v[24:25], v34
	s_delay_alu instid0(VALU_DEP_2) | instskip(SKIP_1) | instid1(VALU_DEP_3)
	v_fma_mix_f32_bf16 v6, v42, v42, v20 op_sel:[0,0,1] op_sel_hi:[0,0,1]
	v_alignbit_b32 v20, v21, v20, 16
	v_fmac_f64_e32 v[24:25], s[10:11], v[32:33]
	s_delay_alu instid0(VALU_DEP_1) | instskip(SKIP_1) | instid1(VALU_DEP_1)
	v_cvt_f32_f64_e32 v22, v[24:25]
	v_mul_f32_e32 v24, 0x4f800000, v1
	v_cndmask_b32_e32 v24, v1, v24, vcc_lo
	s_delay_alu instid0(VALU_DEP_1) | instskip(NEXT) | instid1(VALU_DEP_3)
	v_sqrt_f32_e32 v25, v24
	v_cndmask_b32_e64 v43, v34, v22, s2
	v_cvt_f64_f32_e32 v[22:23], v27
	s_delay_alu instid0(TRANS32_DEP_1) | instskip(NEXT) | instid1(VALU_DEP_3)
	v_add_nc_u32_e32 v27, -1, v25
	v_fma_mix_f32_bf16 v20, v43, v43, v20 op_sel:[0,0,1] op_sel_hi:[0,0,1]
	s_delay_alu instid0(VALU_DEP_2) | instskip(NEXT) | instid1(VALU_DEP_1)
	v_fma_f32 v34, -v27, v25, v24
	v_cmp_ge_f32_e64 s3, 0, v34
	s_delay_alu instid0(VALU_DEP_1) | instskip(NEXT) | instid1(VALU_DEP_1)
	v_dual_add_nc_u32 v34, 1, v25 :: v_dual_cndmask_b32 v27, v25, v27, s3
	v_fma_f32 v25, -v34, v25, v24
	s_delay_alu instid0(VALU_DEP_1) | instskip(NEXT) | instid1(VALU_DEP_1)
	v_cmp_lt_f32_e64 s3, 0, v25
	v_cndmask_b32_e64 v25, v27, v34, s3
	v_mul_f64_e32 v[22:23], v[2:3], v[22:23]
	s_delay_alu instid0(VALU_DEP_2) | instskip(NEXT) | instid1(VALU_DEP_1)
	v_mul_f32_e32 v27, 0x37800000, v25
	v_cndmask_b32_e32 v25, v25, v27, vcc_lo
	v_cmp_class_f32_e64 vcc_lo, v24, 0x260
	s_delay_alu instid0(VALU_DEP_2) | instskip(NEXT) | instid1(VALU_DEP_1)
	v_cndmask_b32_e32 v24, v25, v24, vcc_lo
	v_cvt_f64_f32_e32 v[24:25], v24
	s_delay_alu instid0(VALU_DEP_1) | instskip(NEXT) | instid1(VALU_DEP_1)
	v_add_f64_e32 v[24:25], s[16:17], v[24:25]
	v_div_scale_f64 v[34:35], null, v[24:25], v[24:25], v[22:23]
	s_delay_alu instid0(VALU_DEP_1) | instskip(SKIP_1) | instid1(TRANS32_DEP_1)
	v_rcp_f64_e32 v[36:37], v[34:35]
	v_nop
	v_fma_f64 v[38:39], -v[34:35], v[36:37], 1.0
	s_delay_alu instid0(VALU_DEP_1) | instskip(NEXT) | instid1(VALU_DEP_1)
	v_fmac_f64_e32 v[36:37], v[36:37], v[38:39]
	v_fma_f64 v[38:39], -v[34:35], v[36:37], 1.0
	s_delay_alu instid0(VALU_DEP_1) | instskip(SKIP_1) | instid1(VALU_DEP_1)
	v_fmac_f64_e32 v[36:37], v[36:37], v[38:39]
	v_div_scale_f64 v[38:39], vcc_lo, v[22:23], v[24:25], v[22:23]
	v_mul_f64_e32 v[40:41], v[38:39], v[36:37]
	s_delay_alu instid0(VALU_DEP_1) | instskip(NEXT) | instid1(VALU_DEP_1)
	v_fma_f64 v[34:35], -v[34:35], v[40:41], v[38:39]
	v_div_fmas_f64 v[34:35], v[34:35], v[36:37], v[40:41]
	s_delay_alu instid0(VALU_DEP_1) | instskip(SKIP_1) | instid1(VALU_DEP_2)
	v_div_fixup_f64 v[22:23], v[34:35], v[24:25], v[22:23]
	v_mul_f32_e32 v24, 0x4f800000, v6
	v_add_f64_e64 v[22:23], v[28:29], -v[22:23]
	s_delay_alu instid0(VALU_DEP_1) | instskip(NEXT) | instid1(VALU_DEP_1)
	v_cvt_f32_f64_e32 v22, v[22:23]
	v_bfe_u32 v23, v22, 16, 1
	v_cmp_o_f32_e32 vcc_lo, v22, v22
	s_delay_alu instid0(VALU_DEP_2) | instskip(NEXT) | instid1(VALU_DEP_1)
	v_add3_u32 v23, v22, v23, 0x7fff
	v_lshrrev_b32_e32 v23, 16, v23
	s_delay_alu instid0(VALU_DEP_1) | instskip(SKIP_3) | instid1(VALU_DEP_1)
	v_cndmask_b32_e32 v27, 0x7fc0, v23, vcc_lo
	v_cmp_gt_f32_e32 vcc_lo, 0xf800000, v6
	v_cvt_f64_f32_e32 v[22:23], v42
	v_cndmask_b32_e32 v24, v6, v24, vcc_lo
	v_sqrt_f32_e32 v25, v24
	v_nop
	s_delay_alu instid0(TRANS32_DEP_1) | instskip(NEXT) | instid1(VALU_DEP_1)
	v_add_nc_u32_e32 v28, -1, v25
	v_fma_f32 v29, -v28, v25, v24
	s_delay_alu instid0(VALU_DEP_1) | instskip(NEXT) | instid1(VALU_DEP_1)
	v_cmp_ge_f32_e64 s3, 0, v29
	v_dual_add_nc_u32 v29, 1, v25 :: v_dual_cndmask_b32 v28, v25, v28, s3
	s_delay_alu instid0(VALU_DEP_1) | instskip(NEXT) | instid1(VALU_DEP_1)
	v_dual_mul_f64 v[22:23], v[2:3], v[22:23] :: v_dual_fma_f32 v25, -v29, v25, v24
	v_cmp_lt_f32_e64 s3, 0, v25
	s_delay_alu instid0(VALU_DEP_1) | instskip(NEXT) | instid1(VALU_DEP_1)
	v_cndmask_b32_e64 v25, v28, v29, s3
	v_mul_f32_e32 v28, 0x37800000, v25
	s_delay_alu instid0(VALU_DEP_1) | instskip(SKIP_1) | instid1(VALU_DEP_2)
	v_cndmask_b32_e32 v25, v25, v28, vcc_lo
	v_cmp_class_f32_e64 vcc_lo, v24, 0x260
	v_cndmask_b32_e32 v24, v25, v24, vcc_lo
	s_delay_alu instid0(VALU_DEP_1) | instskip(NEXT) | instid1(VALU_DEP_1)
	v_cvt_f64_f32_e32 v[24:25], v24
	v_add_f64_e32 v[24:25], s[16:17], v[24:25]
	s_delay_alu instid0(VALU_DEP_1) | instskip(NEXT) | instid1(VALU_DEP_1)
	v_div_scale_f64 v[28:29], null, v[24:25], v[24:25], v[22:23]
	v_rcp_f64_e32 v[34:35], v[28:29]
	v_nop
	s_delay_alu instid0(TRANS32_DEP_1) | instskip(NEXT) | instid1(VALU_DEP_1)
	v_fma_f64 v[36:37], -v[28:29], v[34:35], 1.0
	v_fmac_f64_e32 v[34:35], v[34:35], v[36:37]
	s_delay_alu instid0(VALU_DEP_1) | instskip(NEXT) | instid1(VALU_DEP_1)
	v_fma_f64 v[36:37], -v[28:29], v[34:35], 1.0
	v_fmac_f64_e32 v[34:35], v[34:35], v[36:37]
	v_div_scale_f64 v[36:37], vcc_lo, v[22:23], v[24:25], v[22:23]
	s_delay_alu instid0(VALU_DEP_1) | instskip(NEXT) | instid1(VALU_DEP_1)
	v_mul_f64_e32 v[38:39], v[36:37], v[34:35]
	v_fma_f64 v[28:29], -v[28:29], v[38:39], v[36:37]
	s_delay_alu instid0(VALU_DEP_1) | instskip(NEXT) | instid1(VALU_DEP_1)
	v_div_fmas_f64 v[28:29], v[28:29], v[34:35], v[38:39]
	v_div_fixup_f64 v[22:23], v[28:29], v[24:25], v[22:23]
	v_mul_f32_e32 v25, 0x4f800000, v20
	s_delay_alu instid0(VALU_DEP_2) | instskip(NEXT) | instid1(VALU_DEP_1)
	v_add_f64_e64 v[22:23], v[30:31], -v[22:23]
	v_cvt_f32_f64_e32 v22, v[22:23]
	s_delay_alu instid0(VALU_DEP_1) | instskip(SKIP_1) | instid1(VALU_DEP_2)
	v_bfe_u32 v23, v22, 16, 1
	v_cmp_o_f32_e32 vcc_lo, v22, v22
	v_add3_u32 v23, v22, v23, 0x7fff
	s_delay_alu instid0(VALU_DEP_1) | instskip(NEXT) | instid1(VALU_DEP_1)
	v_and_b32_e32 v23, 0xffff0000, v23
	v_cndmask_b32_e32 v22, 0x7fc00000, v23, vcc_lo
	v_cmp_gt_f32_e32 vcc_lo, 0xf800000, v20
	s_delay_alu instid0(VALU_DEP_2) | instskip(SKIP_1) | instid1(VALU_DEP_2)
	v_dual_cndmask_b32 v25, v20, v25, vcc_lo :: v_dual_bitop2_b32 v24, v22, v27 bitop3:0x54
	v_cvt_f64_f32_e32 v[22:23], v43
	v_sqrt_f32_e32 v27, v25
	v_nop
	s_delay_alu instid0(TRANS32_DEP_1) | instskip(NEXT) | instid1(VALU_DEP_1)
	v_add_nc_u32_e32 v28, -1, v27
	v_fma_f32 v29, -v28, v27, v25
	s_delay_alu instid0(VALU_DEP_1) | instskip(NEXT) | instid1(VALU_DEP_1)
	v_cmp_ge_f32_e64 s3, 0, v29
	v_dual_add_nc_u32 v29, 1, v27 :: v_dual_cndmask_b32 v28, v27, v28, s3
	s_delay_alu instid0(VALU_DEP_1) | instskip(NEXT) | instid1(VALU_DEP_1)
	v_fma_f32 v27, -v29, v27, v25
	v_cmp_lt_f32_e64 s3, 0, v27
	s_delay_alu instid0(VALU_DEP_1) | instskip(NEXT) | instid1(VALU_DEP_1)
	v_dual_mul_f64 v[22:23], v[2:3], v[22:23] :: v_dual_cndmask_b32 v27, v28, v29, s3
	v_mul_f32_e32 v28, 0x37800000, v27
	s_delay_alu instid0(VALU_DEP_1) | instskip(SKIP_1) | instid1(VALU_DEP_2)
	v_cndmask_b32_e32 v27, v27, v28, vcc_lo
	v_cmp_class_f32_e64 vcc_lo, v25, 0x260
	v_cndmask_b32_e32 v25, v27, v25, vcc_lo
	s_delay_alu instid0(VALU_DEP_1) | instskip(NEXT) | instid1(VALU_DEP_1)
	v_cvt_f64_f32_e32 v[28:29], v25
	v_add_f64_e32 v[28:29], s[16:17], v[28:29]
	s_delay_alu instid0(VALU_DEP_1) | instskip(NEXT) | instid1(VALU_DEP_1)
	v_div_scale_f64 v[30:31], null, v[28:29], v[28:29], v[22:23]
	v_rcp_f64_e32 v[34:35], v[30:31]
	v_nop
	s_delay_alu instid0(TRANS32_DEP_1) | instskip(NEXT) | instid1(VALU_DEP_1)
	v_fma_f64 v[36:37], -v[30:31], v[34:35], 1.0
	v_fmac_f64_e32 v[34:35], v[34:35], v[36:37]
	s_delay_alu instid0(VALU_DEP_1) | instskip(NEXT) | instid1(VALU_DEP_1)
	v_fma_f64 v[36:37], -v[30:31], v[34:35], 1.0
	v_fmac_f64_e32 v[34:35], v[34:35], v[36:37]
	v_div_scale_f64 v[36:37], vcc_lo, v[22:23], v[28:29], v[22:23]
	s_delay_alu instid0(VALU_DEP_1) | instskip(NEXT) | instid1(VALU_DEP_1)
	v_mul_f64_e32 v[38:39], v[36:37], v[34:35]
	v_fma_f64 v[30:31], -v[30:31], v[38:39], v[36:37]
	s_delay_alu instid0(VALU_DEP_1) | instskip(NEXT) | instid1(VALU_DEP_1)
	v_div_fmas_f64 v[30:31], v[30:31], v[34:35], v[38:39]
	v_div_fixup_f64 v[22:23], v[30:31], v[28:29], v[22:23]
	v_cndmask_b32_e64 v28, v26, -v26, s24
	s_delay_alu instid0(VALU_DEP_1) | instskip(NEXT) | instid1(VALU_DEP_3)
	v_cvt_f64_f32_e32 v[26:27], v28
	v_add_f64_e64 v[22:23], v[32:33], -v[22:23]
	s_delay_alu instid0(VALU_DEP_1) | instskip(NEXT) | instid1(VALU_DEP_1)
	v_cvt_f32_f64_e32 v22, v[22:23]
	v_bfe_u32 v23, v22, 16, 1
	v_cmp_o_f32_e32 vcc_lo, v22, v22
	s_delay_alu instid0(VALU_DEP_2) | instskip(NEXT) | instid1(VALU_DEP_1)
	v_add3_u32 v23, v22, v23, 0x7fff
	v_lshrrev_b32_e32 v23, 16, v23
	s_delay_alu instid0(VALU_DEP_1) | instskip(SKIP_1) | instid1(VALU_DEP_1)
	v_cndmask_b32_e32 v25, 0x7fc0, v23, vcc_lo
	v_cvt_f64_f32_e32 v[22:23], v44
	v_fmac_f64_e32 v[26:27], s[10:11], v[22:23]
	s_delay_alu instid0(VALU_DEP_1) | instskip(NEXT) | instid1(VALU_DEP_1)
	v_cvt_f32_f64_e32 v26, v[26:27]
	v_cndmask_b32_e64 v26, v28, v26, s2
	s_delay_alu instid0(VALU_DEP_1) | instskip(NEXT) | instid1(VALU_DEP_1)
	v_fma_mix_f32_bf16 v21, v26, v26, v21 op_sel:[0,0,1] op_sel_hi:[0,0,1]
	v_cmp_gt_f32_e32 vcc_lo, 0xf800000, v21
	v_mul_f32_e32 v28, 0x4f800000, v21
	s_delay_alu instid0(VALU_DEP_1) | instskip(SKIP_1) | instid1(VALU_DEP_2)
	v_cndmask_b32_e32 v28, v21, v28, vcc_lo
	v_cvt_f64_f32_e32 v[26:27], v26
	v_sqrt_f32_e32 v29, v28
	v_nop
	s_delay_alu instid0(TRANS32_DEP_1) | instskip(NEXT) | instid1(VALU_DEP_1)
	v_add_nc_u32_e32 v30, -1, v29
	v_fma_f32 v31, -v30, v29, v28
	s_delay_alu instid0(VALU_DEP_1) | instskip(NEXT) | instid1(VALU_DEP_1)
	v_cmp_ge_f32_e64 s3, 0, v31
	v_dual_add_nc_u32 v31, 1, v29 :: v_dual_cndmask_b32 v30, v29, v30, s3
	s_delay_alu instid0(VALU_DEP_1) | instskip(NEXT) | instid1(VALU_DEP_1)
	v_fma_f32 v29, -v31, v29, v28
	v_cmp_lt_f32_e64 s3, 0, v29
	s_delay_alu instid0(VALU_DEP_1) | instskip(NEXT) | instid1(VALU_DEP_1)
	v_cndmask_b32_e64 v29, v30, v31, s3
	v_mul_f32_e32 v30, 0x37800000, v29
	s_delay_alu instid0(VALU_DEP_1) | instskip(SKIP_1) | instid1(VALU_DEP_1)
	v_cndmask_b32_e32 v29, v29, v30, vcc_lo
	v_cmp_class_f32_e64 vcc_lo, v28, 0x260
	v_dual_mul_f64 v[26:27], v[2:3], v[26:27] :: v_dual_cndmask_b32 v28, v29, v28, vcc_lo
	s_delay_alu instid0(VALU_DEP_1) | instskip(NEXT) | instid1(VALU_DEP_1)
	v_cvt_f64_f32_e32 v[28:29], v28
	v_add_f64_e32 v[28:29], s[16:17], v[28:29]
	s_delay_alu instid0(VALU_DEP_1) | instskip(NEXT) | instid1(VALU_DEP_1)
	v_div_scale_f64 v[30:31], null, v[28:29], v[28:29], v[26:27]
	v_rcp_f64_e32 v[32:33], v[30:31]
	v_nop
	s_delay_alu instid0(TRANS32_DEP_1) | instskip(NEXT) | instid1(VALU_DEP_1)
	v_fma_f64 v[34:35], -v[30:31], v[32:33], 1.0
	v_fmac_f64_e32 v[32:33], v[32:33], v[34:35]
	s_delay_alu instid0(VALU_DEP_1) | instskip(NEXT) | instid1(VALU_DEP_1)
	v_fma_f64 v[34:35], -v[30:31], v[32:33], 1.0
	v_fmac_f64_e32 v[32:33], v[32:33], v[34:35]
	v_div_scale_f64 v[34:35], vcc_lo, v[26:27], v[28:29], v[26:27]
	s_delay_alu instid0(VALU_DEP_1) | instskip(NEXT) | instid1(VALU_DEP_1)
	v_mul_f64_e32 v[36:37], v[34:35], v[32:33]
	v_fma_f64 v[30:31], -v[30:31], v[36:37], v[34:35]
	s_delay_alu instid0(VALU_DEP_1) | instskip(NEXT) | instid1(VALU_DEP_1)
	v_div_fmas_f64 v[30:31], v[30:31], v[32:33], v[36:37]
	v_div_fixup_f64 v[26:27], v[30:31], v[28:29], v[26:27]
	s_delay_alu instid0(VALU_DEP_1) | instskip(NEXT) | instid1(VALU_DEP_1)
	v_add_f64_e64 v[22:23], v[22:23], -v[26:27]
	v_cvt_f32_f64_e32 v22, v[22:23]
	s_delay_alu instid0(VALU_DEP_1) | instskip(SKIP_1) | instid1(VALU_DEP_2)
	v_bfe_u32 v23, v22, 16, 1
	v_cmp_o_f32_e32 vcc_lo, v22, v22
	v_add3_u32 v23, v22, v23, 0x7fff
	s_delay_alu instid0(VALU_DEP_1) | instskip(NEXT) | instid1(VALU_DEP_1)
	v_and_b32_e32 v23, 0xffff0000, v23
	v_cndmask_b32_e32 v22, 0x7fc00000, v23, vcc_lo
	s_and_not1_b32 vcc_lo, exec_lo, s26
	s_delay_alu instid0(VALU_DEP_1)
	v_or3_b32 v23, 0, v25, v22
	v_or3_b32 v22, v24, 0, 0
	global_store_b64 v[18:19], v[22:23], off
	s_cbranch_vccnz .LBB3_8
; %bb.26:                               ;   in Loop: Header=BB3_9 Depth=1
	global_store_b64 v[14:15], v[16:17], off
	s_branch .LBB3_8
.LBB3_27:
	s_or_b32 exec_lo, exec_lo, s25
	s_mov_b32 s2, 0
.LBB3_28:
	s_delay_alu instid0(SALU_CYCLE_1)
	s_and_not1_b32 vcc_lo, exec_lo, s2
	s_cbranch_vccnz .LBB3_90
; %bb.29:
	v_cmp_lt_i64_e64 s2, s[18:19], 1
	s_and_b32 vcc_lo, exec_lo, s2
	s_cbranch_vccnz .LBB3_90
; %bb.30:
	s_load_b32 s1, s[0:1], 0xe1c
	v_min_i64 v[4:5], 0x10000, s[18:19]
	v_min_u64 v[8:9], 0x10000, s[18:19]
	s_wait_xcnt 0x0
	v_cmp_neq_f64_e64 s0, s[10:11], 0
	v_dual_mov_b32 v6, 0 :: v_dual_lshlrev_b32 v18, 1, v0
	s_mov_b32 s21, 0
	s_delay_alu instid0(SALU_CYCLE_1) | instskip(NEXT) | instid1(VALU_DEP_1)
	s_mov_b32 s3, s21
	v_dual_mov_b32 v19, v6 :: v_dual_mov_b32 v1, v6
	s_mov_b32 s19, s21
	s_mov_b32 s27, s21
	s_delay_alu instid0(VALU_DEP_1) | instskip(SKIP_4) | instid1(SALU_CYCLE_1)
	v_add_nc_u64_e32 v[10:11], s[14:15], v[18:19]
	v_add_nc_u64_e32 v[12:13], s[4:5], v[18:19]
	;; [unrolled: 1-line block ×3, first 2 shown]
	s_wait_kmcnt 0x0
	s_and_b32 s2, s1, 0xffff
	s_lshl_b32 s18, s2, 1
	v_add_nc_u64_e32 v[16:17], s[2:3], v[0:1]
	v_mad_nc_u64_u32 v[26:27], s2, 6, v[18:19]
	s_cmp_lg_u64 s[12:13], 0
	v_mov_b32_e32 v39, v6
	s_cselect_b32 s22, -1, 0
	s_lshl_b32 s20, s2, 2
	s_mul_i32 s26, s2, 3
	v_add_nc_u64_e32 v[32:33], s[20:21], v[18:19]
	v_lshlrev_b32_e32 v38, 1, v16
	v_add_nc_u64_e32 v[18:19], s[26:27], v[0:1]
	v_add_nc_u64_e32 v[20:21], s[18:19], v[0:1]
	s_lshl_b32 s18, s2, 3
	v_add_nc_u64_e32 v[22:23], s[14:15], v[26:27]
	v_add_nc_u64_e32 v[24:25], s[4:5], v[26:27]
	;; [unrolled: 1-line block ×9, first 2 shown]
	s_mov_b64 s[14:15], 0
	s_branch .LBB3_32
.LBB3_31:                               ;   in Loop: Header=BB3_32 Depth=1
	s_wait_xcnt 0x0
	s_or_b32 exec_lo, exec_lo, s1
	s_add_nc_u64 s[14:15], s[14:15], s[20:21]
	v_add_nc_u64_e32 v[10:11], s[18:19], v[10:11]
	v_cmp_ge_i64_e32 vcc_lo, s[14:15], v[4:5]
	v_add_nc_u64_e32 v[12:13], s[18:19], v[12:13]
	v_add_nc_u64_e32 v[14:15], s[18:19], v[14:15]
	;; [unrolled: 1-line block ×11, first 2 shown]
	s_cbranch_vccnz .LBB3_90
.LBB3_32:                               ; =>This Inner Loop Header: Depth=1
	v_add_nc_u64_e32 v[44:45], s[14:15], v[0:1]
	v_mov_b64_e32 v[42:43], 0
	v_mov_b64_e32 v[40:41], 0
	s_delay_alu instid0(VALU_DEP_3)
	v_cmp_lt_u64_e64 s1, v[44:45], v[8:9]
	v_mov_b64_e32 v[44:45], 0
	s_and_saveexec_b32 s2, s1
	s_cbranch_execz .LBB3_34
; %bb.33:                               ;   in Loop: Header=BB3_32 Depth=1
	v_add_nc_u64_e32 v[40:41], s[8:9], v[10:11]
	v_add_nc_u64_e32 v[44:45], s[8:9], v[12:13]
	global_load_u16 v7, v[40:41], off
	global_load_u16 v46, v[44:45], off
	s_wait_xcnt 0x0
	v_dual_mov_b32 v45, s21 :: v_dual_mov_b32 v41, s21
	s_wait_loadcnt 0x1
	v_and_b32_e32 v44, 0xffff, v7
	s_wait_loadcnt 0x0
	v_and_b32_e32 v40, 0xffff, v46
.LBB3_34:                               ;   in Loop: Header=BB3_32 Depth=1
	s_or_b32 exec_lo, exec_lo, s2
	s_and_saveexec_b32 s2, s1
	s_cbranch_execz .LBB3_36
; %bb.35:                               ;   in Loop: Header=BB3_32 Depth=1
	v_add_nc_u64_e32 v[42:43], s[8:9], v[14:15]
	global_load_u16 v7, v[42:43], off
	s_wait_xcnt 0x0
	v_mov_b32_e32 v43, s21
	s_wait_loadcnt 0x0
	v_and_b32_e32 v42, 0xffff, v7
.LBB3_36:                               ;   in Loop: Header=BB3_32 Depth=1
	s_or_b32 exec_lo, exec_lo, s2
	v_add_nc_u64_e32 v[46:47], s[14:15], v[16:17]
	s_delay_alu instid0(VALU_DEP_1)
	v_cmp_lt_u64_e64 s2, v[46:47], v[8:9]
	s_and_saveexec_b32 s3, s2
	s_cbranch_execz .LBB3_38
; %bb.37:                               ;   in Loop: Header=BB3_32 Depth=1
	v_add_nc_u64_e32 v[46:47], s[8:9], v[34:35]
	v_add_nc_u64_e32 v[48:49], s[8:9], v[36:37]
	global_load_u16 v7, v[46:47], off
	global_load_u16 v50, v[48:49], off
	s_wait_loadcnt 0x1
	v_lshl_or_b32 v44, v7, 16, v44
	s_wait_loadcnt 0x0
	v_lshl_or_b32 v40, v50, 16, v40
.LBB3_38:                               ;   in Loop: Header=BB3_32 Depth=1
	s_wait_xcnt 0x0
	s_or_b32 exec_lo, exec_lo, s3
	s_and_saveexec_b32 s3, s2
	s_cbranch_execz .LBB3_40
; %bb.39:                               ;   in Loop: Header=BB3_32 Depth=1
	v_add_nc_u64_e32 v[46:47], s[8:9], v[38:39]
	global_load_u16 v7, v[46:47], off
	s_wait_loadcnt 0x0
	v_lshl_or_b32 v42, v7, 16, v42
.LBB3_40:                               ;   in Loop: Header=BB3_32 Depth=1
	s_wait_xcnt 0x0
	s_or_b32 exec_lo, exec_lo, s3
	v_add_nc_u64_e32 v[46:47], s[14:15], v[20:21]
	s_mov_b32 s4, exec_lo
	s_delay_alu instid0(VALU_DEP_1) | instskip(SKIP_2) | instid1(SALU_CYCLE_1)
	v_cmp_lt_u64_e64 s3, v[46:47], v[8:9]
	v_cmpx_ge_u64_e64 v[46:47], v[8:9]
	s_xor_b32 s4, exec_lo, s4
	s_and_not1_saveexec_b32 s4, s4
	s_cbranch_execz .LBB3_42
; %bb.41:                               ;   in Loop: Header=BB3_32 Depth=1
	v_add_nc_u64_e32 v[46:47], s[8:9], v[28:29]
	v_add_nc_u64_e32 v[48:49], s[8:9], v[30:31]
	global_load_u16 v7, v[46:47], off
	global_load_u16 v50, v[48:49], off
	s_wait_loadcnt 0x1
	v_or_b32_e32 v45, v7, v45
	s_wait_loadcnt 0x0
	v_or_b32_e32 v41, v50, v41
.LBB3_42:                               ;   in Loop: Header=BB3_32 Depth=1
	s_wait_xcnt 0x0
	s_or_b32 exec_lo, exec_lo, s4
	s_and_saveexec_b32 s4, s3
	s_cbranch_execz .LBB3_44
; %bb.43:                               ;   in Loop: Header=BB3_32 Depth=1
	v_add_nc_u64_e32 v[46:47], s[8:9], v[32:33]
	global_load_u16 v7, v[46:47], off
	s_wait_loadcnt 0x0
	v_or_b32_e32 v43, v7, v43
.LBB3_44:                               ;   in Loop: Header=BB3_32 Depth=1
	s_wait_xcnt 0x0
	s_or_b32 exec_lo, exec_lo, s4
	v_add_nc_u64_e32 v[46:47], s[14:15], v[18:19]
	s_delay_alu instid0(VALU_DEP_1)
	v_cmp_lt_u64_e64 s4, v[46:47], v[8:9]
	s_and_saveexec_b32 s5, s4
	s_cbranch_execnz .LBB3_81
; %bb.45:                               ;   in Loop: Header=BB3_32 Depth=1
	s_or_b32 exec_lo, exec_lo, s5
	s_and_saveexec_b32 s5, s4
	s_cbranch_execnz .LBB3_82
.LBB3_46:                               ;   in Loop: Header=BB3_32 Depth=1
	s_or_b32 exec_lo, exec_lo, s5
	v_lshlrev_b32_e32 v7, 16, v40
	s_and_not1_b32 vcc_lo, exec_lo, s22
	s_cbranch_vccnz .LBB3_48
.LBB3_47:                               ;   in Loop: Header=BB3_32 Depth=1
	global_load_b32 v46, v6, s[12:13]
	s_wait_loadcnt 0x0
	v_div_scale_f32 v47, null, v46, v46, v7
	s_delay_alu instid0(VALU_DEP_1) | instskip(SKIP_1) | instid1(TRANS32_DEP_1)
	v_rcp_f32_e32 v48, v47
	v_nop
	v_fma_f32 v49, -v47, v48, 1.0
	s_delay_alu instid0(VALU_DEP_1) | instskip(SKIP_1) | instid1(VALU_DEP_1)
	v_fmac_f32_e32 v48, v49, v48
	v_div_scale_f32 v49, vcc_lo, v7, v46, v7
	v_mul_f32_e32 v50, v49, v48
	s_delay_alu instid0(VALU_DEP_1) | instskip(NEXT) | instid1(VALU_DEP_1)
	v_fma_f32 v51, -v47, v50, v49
	v_fmac_f32_e32 v50, v51, v48
	s_delay_alu instid0(VALU_DEP_1) | instskip(NEXT) | instid1(VALU_DEP_1)
	v_fma_f32 v47, -v47, v50, v49
	v_div_fmas_f32 v47, v47, v48, v50
	s_delay_alu instid0(VALU_DEP_1)
	v_div_fixup_f32 v7, v47, v46, v7
.LBB3_48:                               ;   in Loop: Header=BB3_32 Depth=1
	s_and_not1_b32 vcc_lo, exec_lo, s22
	s_cbranch_vccnz .LBB3_50
; %bb.49:                               ;   in Loop: Header=BB3_32 Depth=1
	s_delay_alu instid0(VALU_DEP_1) | instskip(SKIP_2) | instid1(VALU_DEP_3)
	v_bfe_u32 v46, v7, 16, 1
	v_cmp_o_f32_e32 vcc_lo, v7, v7
	v_and_b32_e32 v40, 0xffff0000, v40
	v_add3_u32 v46, v7, v46, 0x7fff
	s_delay_alu instid0(VALU_DEP_1) | instskip(NEXT) | instid1(VALU_DEP_1)
	v_lshrrev_b32_e32 v46, 16, v46
	v_cndmask_b32_e32 v46, 0x7fc0, v46, vcc_lo
	s_delay_alu instid0(VALU_DEP_1)
	v_or_b32_e32 v40, v46, v40
.LBB3_50:                               ;   in Loop: Header=BB3_32 Depth=1
	s_delay_alu instid0(VALU_DEP_1)
	v_and_b32_e32 v48, 0xffff0000, v40
	s_and_not1_b32 vcc_lo, exec_lo, s22
	s_cbranch_vccnz .LBB3_52
; %bb.51:                               ;   in Loop: Header=BB3_32 Depth=1
	global_load_b32 v46, v6, s[12:13]
	s_wait_loadcnt 0x0
	v_div_scale_f32 v47, null, v46, v46, v48
	s_delay_alu instid0(VALU_DEP_1) | instskip(SKIP_1) | instid1(TRANS32_DEP_1)
	v_rcp_f32_e32 v49, v47
	v_nop
	v_fma_f32 v50, -v47, v49, 1.0
	s_delay_alu instid0(VALU_DEP_1) | instskip(SKIP_1) | instid1(VALU_DEP_1)
	v_fmac_f32_e32 v49, v50, v49
	v_div_scale_f32 v50, vcc_lo, v48, v46, v48
	v_mul_f32_e32 v51, v50, v49
	s_delay_alu instid0(VALU_DEP_1) | instskip(NEXT) | instid1(VALU_DEP_1)
	v_fma_f32 v52, -v47, v51, v50
	v_fmac_f32_e32 v51, v52, v49
	s_delay_alu instid0(VALU_DEP_1) | instskip(NEXT) | instid1(VALU_DEP_1)
	v_fma_f32 v47, -v47, v51, v50
	v_div_fmas_f32 v47, v47, v49, v51
	s_delay_alu instid0(VALU_DEP_1)
	v_div_fixup_f32 v48, v47, v46, v48
.LBB3_52:                               ;   in Loop: Header=BB3_32 Depth=1
	s_and_not1_b32 vcc_lo, exec_lo, s22
	s_cbranch_vccnz .LBB3_54
; %bb.53:                               ;   in Loop: Header=BB3_32 Depth=1
	s_delay_alu instid0(VALU_DEP_1) | instskip(SKIP_2) | instid1(VALU_DEP_3)
	v_bfe_u32 v46, v48, 16, 1
	v_cmp_o_f32_e32 vcc_lo, v48, v48
	v_and_b32_e32 v40, 0xffff, v40
	v_add3_u32 v46, v48, v46, 0x7fff
	s_delay_alu instid0(VALU_DEP_1) | instskip(NEXT) | instid1(VALU_DEP_1)
	v_and_b32_e32 v46, 0xffff0000, v46
	v_cndmask_b32_e32 v46, 0x7fc00000, v46, vcc_lo
	s_delay_alu instid0(VALU_DEP_1)
	v_or_b32_e32 v40, v46, v40
.LBB3_54:                               ;   in Loop: Header=BB3_32 Depth=1
	s_delay_alu instid0(VALU_DEP_1) | instskip(SKIP_1) | instid1(VALU_DEP_1)
	v_alignbit_b32 v46, v41, v40, 16
	s_and_not1_b32 vcc_lo, exec_lo, s22
	v_and_b32_e32 v50, 0xffff0000, v46
	s_cbranch_vccnz .LBB3_56
; %bb.55:                               ;   in Loop: Header=BB3_32 Depth=1
	global_load_b32 v46, v6, s[12:13]
	s_wait_loadcnt 0x0
	v_div_scale_f32 v47, null, v46, v46, v50
	s_delay_alu instid0(VALU_DEP_1) | instskip(SKIP_1) | instid1(TRANS32_DEP_1)
	v_rcp_f32_e32 v49, v47
	v_nop
	v_fma_f32 v51, -v47, v49, 1.0
	s_delay_alu instid0(VALU_DEP_1) | instskip(SKIP_1) | instid1(VALU_DEP_1)
	v_fmac_f32_e32 v49, v51, v49
	v_div_scale_f32 v51, vcc_lo, v50, v46, v50
	v_mul_f32_e32 v52, v51, v49
	s_delay_alu instid0(VALU_DEP_1) | instskip(NEXT) | instid1(VALU_DEP_1)
	v_fma_f32 v53, -v47, v52, v51
	v_fmac_f32_e32 v52, v53, v49
	s_delay_alu instid0(VALU_DEP_1) | instskip(NEXT) | instid1(VALU_DEP_1)
	v_fma_f32 v47, -v47, v52, v51
	v_div_fmas_f32 v47, v47, v49, v52
	s_delay_alu instid0(VALU_DEP_1)
	v_div_fixup_f32 v50, v47, v46, v50
.LBB3_56:                               ;   in Loop: Header=BB3_32 Depth=1
	s_and_not1_b32 vcc_lo, exec_lo, s22
	s_cbranch_vccnz .LBB3_58
; %bb.57:                               ;   in Loop: Header=BB3_32 Depth=1
	s_delay_alu instid0(VALU_DEP_1) | instskip(SKIP_2) | instid1(VALU_DEP_3)
	v_bfe_u32 v46, v50, 16, 1
	v_cmp_o_f32_e32 vcc_lo, v50, v50
	v_and_b32_e32 v41, 0xffff0000, v41
	v_add3_u32 v46, v50, v46, 0x7fff
	s_delay_alu instid0(VALU_DEP_1) | instskip(NEXT) | instid1(VALU_DEP_1)
	v_lshrrev_b32_e32 v46, 16, v46
	v_cndmask_b32_e32 v46, 0x7fc0, v46, vcc_lo
	s_delay_alu instid0(VALU_DEP_1)
	v_or_b32_e32 v41, v46, v41
.LBB3_58:                               ;   in Loop: Header=BB3_32 Depth=1
	s_delay_alu instid0(VALU_DEP_1)
	v_and_b32_e32 v49, 0xffff0000, v41
	s_and_not1_b32 vcc_lo, exec_lo, s22
	s_cbranch_vccnz .LBB3_60
; %bb.59:                               ;   in Loop: Header=BB3_32 Depth=1
	global_load_b32 v46, v6, s[12:13]
	s_wait_loadcnt 0x0
	v_div_scale_f32 v47, null, v46, v46, v49
	s_delay_alu instid0(VALU_DEP_1) | instskip(SKIP_1) | instid1(TRANS32_DEP_1)
	v_rcp_f32_e32 v51, v47
	v_nop
	v_fma_f32 v52, -v47, v51, 1.0
	s_delay_alu instid0(VALU_DEP_1) | instskip(SKIP_1) | instid1(VALU_DEP_1)
	v_fmac_f32_e32 v51, v52, v51
	v_div_scale_f32 v52, vcc_lo, v49, v46, v49
	v_mul_f32_e32 v53, v52, v51
	s_delay_alu instid0(VALU_DEP_1) | instskip(NEXT) | instid1(VALU_DEP_1)
	v_fma_f32 v54, -v47, v53, v52
	v_fmac_f32_e32 v53, v54, v51
	s_delay_alu instid0(VALU_DEP_1) | instskip(NEXT) | instid1(VALU_DEP_1)
	v_fma_f32 v47, -v47, v53, v52
	v_div_fmas_f32 v47, v47, v51, v53
	s_delay_alu instid0(VALU_DEP_1)
	v_div_fixup_f32 v49, v47, v46, v49
.LBB3_60:                               ;   in Loop: Header=BB3_32 Depth=1
	s_and_not1_b32 vcc_lo, exec_lo, s22
	s_cbranch_vccnz .LBB3_62
; %bb.61:                               ;   in Loop: Header=BB3_32 Depth=1
	s_delay_alu instid0(VALU_DEP_1) | instskip(SKIP_2) | instid1(VALU_DEP_3)
	v_bfe_u32 v46, v49, 16, 1
	v_cmp_o_f32_e32 vcc_lo, v49, v49
	v_and_b32_e32 v41, 0xffff, v41
	v_add3_u32 v46, v49, v46, 0x7fff
	s_delay_alu instid0(VALU_DEP_1) | instskip(NEXT) | instid1(VALU_DEP_1)
	v_and_b32_e32 v46, 0xffff0000, v46
	v_cndmask_b32_e32 v46, 0x7fc00000, v46, vcc_lo
	s_delay_alu instid0(VALU_DEP_1)
	v_or_b32_e32 v41, v46, v41
.LBB3_62:                               ;   in Loop: Header=BB3_32 Depth=1
	v_dual_lshlrev_b32 v46, 16, v44 :: v_dual_cndmask_b32 v7, v7, -v7, s24
	s_delay_alu instid0(VALU_DEP_1) | instskip(NEXT) | instid1(VALU_DEP_2)
	v_cvt_f64_f32_e32 v[46:47], v46
	v_cvt_f64_f32_e32 v[52:53], v7
	s_delay_alu instid0(VALU_DEP_1) | instskip(NEXT) | instid1(VALU_DEP_1)
	v_fmac_f64_e32 v[52:53], s[10:11], v[46:47]
	v_cvt_f32_f64_e32 v51, v[52:53]
	s_delay_alu instid0(VALU_DEP_1) | instskip(NEXT) | instid1(VALU_DEP_1)
	v_cndmask_b32_e64 v51, v7, v51, s0
	v_fma_mix_f32_bf16 v7, v51, v51, v42 op_sel_hi:[0,0,1]
	s_wait_xcnt 0x0
	s_and_saveexec_b32 s7, s1
	s_cbranch_execz .LBB3_64
; %bb.63:                               ;   in Loop: Header=BB3_32 Depth=1
	s_delay_alu instid0(VALU_DEP_1) | instskip(SKIP_1) | instid1(VALU_DEP_2)
	v_mul_f32_e32 v52, 0x4f800000, v7
	v_cmp_gt_f32_e32 vcc_lo, 0xf800000, v7
	v_cndmask_b32_e32 v52, v7, v52, vcc_lo
	s_delay_alu instid0(VALU_DEP_1) | instskip(SKIP_1) | instid1(TRANS32_DEP_1)
	v_sqrt_f32_e32 v53, v52
	v_nop
	v_dual_add_nc_u32 v54, -1, v53 :: v_dual_add_nc_u32 v55, 1, v53
	s_delay_alu instid0(VALU_DEP_1) | instskip(NEXT) | instid1(VALU_DEP_1)
	v_dual_fma_f32 v56, -v54, v53, v52 :: v_dual_fma_f32 v57, -v55, v53, v52
	v_cmp_ge_f32_e64 s5, 0, v56
	s_delay_alu instid0(VALU_DEP_2) | instskip(NEXT) | instid1(VALU_DEP_2)
	v_cmp_lt_f32_e64 s6, 0, v57
	v_cndmask_b32_e64 v53, v53, v54, s5
	v_cmp_class_f32_e64 s5, v52, 0x260
	s_delay_alu instid0(VALU_DEP_2) | instskip(NEXT) | instid1(VALU_DEP_1)
	v_cndmask_b32_e64 v53, v53, v55, s6
	v_mul_f32_e32 v54, 0x37800000, v53
	s_delay_alu instid0(VALU_DEP_1) | instskip(NEXT) | instid1(VALU_DEP_1)
	v_cndmask_b32_e32 v53, v53, v54, vcc_lo
	v_cndmask_b32_e64 v54, v53, v52, s5
	v_cvt_f64_f32_e32 v[52:53], v51
	s_delay_alu instid0(VALU_DEP_2) | instskip(NEXT) | instid1(VALU_DEP_2)
	v_cvt_f64_f32_e32 v[54:55], v54
	v_mul_f64_e32 v[52:53], v[2:3], v[52:53]
	s_delay_alu instid0(VALU_DEP_2) | instskip(NEXT) | instid1(VALU_DEP_1)
	v_add_f64_e32 v[54:55], s[16:17], v[54:55]
	v_div_scale_f64 v[56:57], null, v[54:55], v[54:55], v[52:53]
	v_div_scale_f64 v[62:63], vcc_lo, v[52:53], v[54:55], v[52:53]
	s_delay_alu instid0(VALU_DEP_2) | instskip(SKIP_1) | instid1(TRANS32_DEP_1)
	v_rcp_f64_e32 v[58:59], v[56:57]
	v_nop
	v_fma_f64 v[60:61], -v[56:57], v[58:59], 1.0
	s_delay_alu instid0(VALU_DEP_1) | instskip(NEXT) | instid1(VALU_DEP_1)
	v_fmac_f64_e32 v[58:59], v[58:59], v[60:61]
	v_fma_f64 v[60:61], -v[56:57], v[58:59], 1.0
	s_delay_alu instid0(VALU_DEP_1) | instskip(NEXT) | instid1(VALU_DEP_1)
	v_fmac_f64_e32 v[58:59], v[58:59], v[60:61]
	v_mul_f64_e32 v[60:61], v[62:63], v[58:59]
	s_delay_alu instid0(VALU_DEP_1) | instskip(NEXT) | instid1(VALU_DEP_1)
	v_fma_f64 v[56:57], -v[56:57], v[60:61], v[62:63]
	v_div_fmas_f64 v[56:57], v[56:57], v[58:59], v[60:61]
	s_delay_alu instid0(VALU_DEP_1) | instskip(NEXT) | instid1(VALU_DEP_1)
	v_div_fixup_f64 v[52:53], v[56:57], v[54:55], v[52:53]
	v_add_f64_e64 v[46:47], v[46:47], -v[52:53]
	s_delay_alu instid0(VALU_DEP_1) | instskip(NEXT) | instid1(VALU_DEP_1)
	v_cvt_f32_f64_e32 v46, v[46:47]
	v_bfe_u32 v47, v46, 16, 1
	v_cmp_o_f32_e32 vcc_lo, v46, v46
	s_delay_alu instid0(VALU_DEP_2) | instskip(NEXT) | instid1(VALU_DEP_1)
	v_add3_u32 v47, v46, v47, 0x7fff
	v_lshrrev_b32_e32 v51, 16, v47
	v_add_nc_u64_e32 v[46:47], s[8:9], v[10:11]
	s_delay_alu instid0(VALU_DEP_2)
	v_cndmask_b32_e32 v51, 0x7fc0, v51, vcc_lo
	global_store_b16 v[46:47], v51, off
.LBB3_64:                               ;   in Loop: Header=BB3_32 Depth=1
	s_wait_xcnt 0x0
	s_or_b32 exec_lo, exec_lo, s7
	v_and_b32_e32 v46, 0xffff0000, v44
	v_cndmask_b32_e64 v48, v48, -v48, s24
	s_delay_alu instid0(VALU_DEP_2) | instskip(NEXT) | instid1(VALU_DEP_2)
	v_cvt_f64_f32_e32 v[46:47], v46
	v_cvt_f64_f32_e32 v[52:53], v48
	s_delay_alu instid0(VALU_DEP_1) | instskip(NEXT) | instid1(VALU_DEP_1)
	v_fmac_f64_e32 v[52:53], s[10:11], v[46:47]
	v_cvt_f32_f64_e32 v51, v[52:53]
	s_delay_alu instid0(VALU_DEP_1) | instskip(NEXT) | instid1(VALU_DEP_1)
	v_cndmask_b32_e64 v51, v48, v51, s0
	v_fma_mix_f32_bf16 v48, v51, v51, v42 op_sel:[0,0,1] op_sel_hi:[0,0,1]
	s_and_saveexec_b32 s6, s2
	s_cbranch_execz .LBB3_66
; %bb.65:                               ;   in Loop: Header=BB3_32 Depth=1
	s_delay_alu instid0(VALU_DEP_1) | instskip(SKIP_1) | instid1(VALU_DEP_2)
	v_mul_f32_e32 v52, 0x4f800000, v48
	v_cmp_gt_f32_e32 vcc_lo, 0xf800000, v48
	v_cndmask_b32_e32 v52, v48, v52, vcc_lo
	s_delay_alu instid0(VALU_DEP_1) | instskip(SKIP_1) | instid1(TRANS32_DEP_1)
	v_sqrt_f32_e32 v53, v52
	v_nop
	v_dual_add_nc_u32 v54, -1, v53 :: v_dual_add_nc_u32 v55, 1, v53
	s_delay_alu instid0(VALU_DEP_1) | instskip(NEXT) | instid1(VALU_DEP_1)
	v_dual_fma_f32 v56, -v54, v53, v52 :: v_dual_fma_f32 v57, -v55, v53, v52
	v_cmp_ge_f32_e64 s5, 0, v56
	s_delay_alu instid0(VALU_DEP_1) | instskip(NEXT) | instid1(VALU_DEP_3)
	v_cndmask_b32_e64 v53, v53, v54, s5
	v_cmp_lt_f32_e64 s5, 0, v57
	s_delay_alu instid0(VALU_DEP_1) | instskip(NEXT) | instid1(VALU_DEP_1)
	v_cndmask_b32_e64 v53, v53, v55, s5
	v_mul_f32_e32 v54, 0x37800000, v53
	s_delay_alu instid0(VALU_DEP_1) | instskip(SKIP_1) | instid1(VALU_DEP_2)
	v_cndmask_b32_e32 v53, v53, v54, vcc_lo
	v_cmp_class_f32_e64 vcc_lo, v52, 0x260
	v_cndmask_b32_e32 v54, v53, v52, vcc_lo
	v_cvt_f64_f32_e32 v[52:53], v51
	s_delay_alu instid0(VALU_DEP_2) | instskip(NEXT) | instid1(VALU_DEP_2)
	v_cvt_f64_f32_e32 v[54:55], v54
	v_mul_f64_e32 v[52:53], v[2:3], v[52:53]
	s_delay_alu instid0(VALU_DEP_2) | instskip(NEXT) | instid1(VALU_DEP_1)
	v_add_f64_e32 v[54:55], s[16:17], v[54:55]
	v_div_scale_f64 v[56:57], null, v[54:55], v[54:55], v[52:53]
	s_delay_alu instid0(VALU_DEP_1) | instskip(SKIP_1) | instid1(TRANS32_DEP_1)
	v_rcp_f64_e32 v[58:59], v[56:57]
	v_nop
	v_fma_f64 v[60:61], -v[56:57], v[58:59], 1.0
	s_delay_alu instid0(VALU_DEP_1) | instskip(NEXT) | instid1(VALU_DEP_1)
	v_fmac_f64_e32 v[58:59], v[58:59], v[60:61]
	v_fma_f64 v[60:61], -v[56:57], v[58:59], 1.0
	s_delay_alu instid0(VALU_DEP_1) | instskip(SKIP_1) | instid1(VALU_DEP_1)
	v_fmac_f64_e32 v[58:59], v[58:59], v[60:61]
	v_div_scale_f64 v[60:61], vcc_lo, v[52:53], v[54:55], v[52:53]
	v_mul_f64_e32 v[62:63], v[60:61], v[58:59]
	s_delay_alu instid0(VALU_DEP_1) | instskip(NEXT) | instid1(VALU_DEP_1)
	v_fma_f64 v[56:57], -v[56:57], v[62:63], v[60:61]
	v_div_fmas_f64 v[56:57], v[56:57], v[58:59], v[62:63]
	s_delay_alu instid0(VALU_DEP_1) | instskip(NEXT) | instid1(VALU_DEP_1)
	v_div_fixup_f64 v[52:53], v[56:57], v[54:55], v[52:53]
	v_add_f64_e64 v[46:47], v[46:47], -v[52:53]
	s_delay_alu instid0(VALU_DEP_1) | instskip(NEXT) | instid1(VALU_DEP_1)
	v_cvt_f32_f64_e32 v51, v[46:47]
	v_bfe_u32 v46, v51, 16, 1
	v_cmp_o_f32_e32 vcc_lo, v51, v51
	s_delay_alu instid0(VALU_DEP_2) | instskip(NEXT) | instid1(VALU_DEP_1)
	v_add3_u32 v46, v51, v46, 0x7fff
	v_lshrrev_b32_e32 v52, 16, v46
	v_add_nc_u64_e32 v[46:47], s[8:9], v[34:35]
	s_delay_alu instid0(VALU_DEP_2)
	v_cndmask_b32_e32 v51, 0x7fc0, v52, vcc_lo
	global_store_b16 v[46:47], v51, off
.LBB3_66:                               ;   in Loop: Header=BB3_32 Depth=1
	s_wait_xcnt 0x0
	s_or_b32 exec_lo, exec_lo, s6
	v_alignbit_b32 v44, v45, v44, 16
	v_cndmask_b32_e64 v52, v50, -v50, s24
	v_alignbit_b32 v42, v43, v42, 16
	s_delay_alu instid0(VALU_DEP_3) | instskip(NEXT) | instid1(VALU_DEP_3)
	v_and_b32_e32 v44, 0xffff0000, v44
	v_cvt_f64_f32_e32 v[50:51], v52
	s_delay_alu instid0(VALU_DEP_2) | instskip(NEXT) | instid1(VALU_DEP_1)
	v_cvt_f64_f32_e32 v[46:47], v44
	v_fmac_f64_e32 v[50:51], s[10:11], v[46:47]
	s_delay_alu instid0(VALU_DEP_1) | instskip(NEXT) | instid1(VALU_DEP_1)
	v_cvt_f32_f64_e32 v44, v[50:51]
	v_cndmask_b32_e64 v44, v52, v44, s0
	s_delay_alu instid0(VALU_DEP_1)
	v_fma_mix_f32_bf16 v42, v44, v44, v42 op_sel:[0,0,1] op_sel_hi:[0,0,1]
	s_and_saveexec_b32 s6, s3
	s_cbranch_execz .LBB3_68
; %bb.67:                               ;   in Loop: Header=BB3_32 Depth=1
	s_delay_alu instid0(VALU_DEP_1) | instskip(SKIP_1) | instid1(VALU_DEP_2)
	v_mul_f32_e32 v50, 0x4f800000, v42
	v_cmp_gt_f32_e32 vcc_lo, 0xf800000, v42
	v_cndmask_b32_e32 v50, v42, v50, vcc_lo
	s_delay_alu instid0(VALU_DEP_1) | instskip(SKIP_1) | instid1(TRANS32_DEP_1)
	v_sqrt_f32_e32 v51, v50
	v_nop
	v_dual_add_nc_u32 v52, -1, v51 :: v_dual_add_nc_u32 v53, 1, v51
	s_delay_alu instid0(VALU_DEP_1) | instskip(NEXT) | instid1(VALU_DEP_1)
	v_dual_fma_f32 v54, -v52, v51, v50 :: v_dual_fma_f32 v55, -v53, v51, v50
	v_cmp_ge_f32_e64 s5, 0, v54
	s_delay_alu instid0(VALU_DEP_1) | instskip(NEXT) | instid1(VALU_DEP_3)
	v_cndmask_b32_e64 v51, v51, v52, s5
	v_cmp_lt_f32_e64 s5, 0, v55
	s_delay_alu instid0(VALU_DEP_1) | instskip(NEXT) | instid1(VALU_DEP_1)
	v_cndmask_b32_e64 v51, v51, v53, s5
	v_mul_f32_e32 v52, 0x37800000, v51
	s_delay_alu instid0(VALU_DEP_1) | instskip(SKIP_1) | instid1(VALU_DEP_2)
	v_cndmask_b32_e32 v51, v51, v52, vcc_lo
	v_cmp_class_f32_e64 vcc_lo, v50, 0x260
	v_cndmask_b32_e32 v52, v51, v50, vcc_lo
	v_cvt_f64_f32_e32 v[50:51], v44
	s_delay_alu instid0(VALU_DEP_2) | instskip(NEXT) | instid1(VALU_DEP_2)
	v_cvt_f64_f32_e32 v[52:53], v52
	v_mul_f64_e32 v[50:51], v[2:3], v[50:51]
	s_delay_alu instid0(VALU_DEP_2) | instskip(NEXT) | instid1(VALU_DEP_1)
	v_add_f64_e32 v[52:53], s[16:17], v[52:53]
	v_div_scale_f64 v[54:55], null, v[52:53], v[52:53], v[50:51]
	s_delay_alu instid0(VALU_DEP_1) | instskip(SKIP_1) | instid1(TRANS32_DEP_1)
	v_rcp_f64_e32 v[56:57], v[54:55]
	v_nop
	v_fma_f64 v[58:59], -v[54:55], v[56:57], 1.0
	s_delay_alu instid0(VALU_DEP_1) | instskip(NEXT) | instid1(VALU_DEP_1)
	v_fmac_f64_e32 v[56:57], v[56:57], v[58:59]
	v_fma_f64 v[58:59], -v[54:55], v[56:57], 1.0
	s_delay_alu instid0(VALU_DEP_1) | instskip(SKIP_1) | instid1(VALU_DEP_1)
	v_fmac_f64_e32 v[56:57], v[56:57], v[58:59]
	v_div_scale_f64 v[58:59], vcc_lo, v[50:51], v[52:53], v[50:51]
	v_mul_f64_e32 v[60:61], v[58:59], v[56:57]
	s_delay_alu instid0(VALU_DEP_1) | instskip(NEXT) | instid1(VALU_DEP_1)
	v_fma_f64 v[54:55], -v[54:55], v[60:61], v[58:59]
	v_div_fmas_f64 v[54:55], v[54:55], v[56:57], v[60:61]
	s_delay_alu instid0(VALU_DEP_1) | instskip(NEXT) | instid1(VALU_DEP_1)
	v_div_fixup_f64 v[50:51], v[54:55], v[52:53], v[50:51]
	v_add_f64_e64 v[46:47], v[46:47], -v[50:51]
	s_delay_alu instid0(VALU_DEP_1) | instskip(NEXT) | instid1(VALU_DEP_1)
	v_cvt_f32_f64_e32 v44, v[46:47]
	v_bfe_u32 v46, v44, 16, 1
	v_cmp_o_f32_e32 vcc_lo, v44, v44
	s_delay_alu instid0(VALU_DEP_2) | instskip(NEXT) | instid1(VALU_DEP_1)
	v_add3_u32 v46, v44, v46, 0x7fff
	v_lshrrev_b32_e32 v50, 16, v46
	v_add_nc_u64_e32 v[46:47], s[8:9], v[28:29]
	s_delay_alu instid0(VALU_DEP_2)
	v_cndmask_b32_e32 v44, 0x7fc0, v50, vcc_lo
	global_store_b16 v[46:47], v44, off
.LBB3_68:                               ;   in Loop: Header=BB3_32 Depth=1
	s_wait_xcnt 0x0
	s_or_b32 exec_lo, exec_lo, s6
	v_and_b32_e32 v44, 0xffff0000, v45
	v_cndmask_b32_e64 v49, v49, -v49, s24
	s_delay_alu instid0(VALU_DEP_2) | instskip(NEXT) | instid1(VALU_DEP_2)
	v_cvt_f64_f32_e32 v[44:45], v44
	v_cvt_f64_f32_e32 v[46:47], v49
	s_delay_alu instid0(VALU_DEP_1) | instskip(NEXT) | instid1(VALU_DEP_1)
	v_fmac_f64_e32 v[46:47], s[10:11], v[44:45]
	v_cvt_f32_f64_e32 v46, v[46:47]
	s_delay_alu instid0(VALU_DEP_1) | instskip(NEXT) | instid1(VALU_DEP_1)
	v_cndmask_b32_e64 v46, v49, v46, s0
	v_fma_mix_f32_bf16 v43, v46, v46, v43 op_sel:[0,0,1] op_sel_hi:[0,0,1]
	s_and_saveexec_b32 s6, s4
	s_cbranch_execz .LBB3_70
; %bb.69:                               ;   in Loop: Header=BB3_32 Depth=1
	s_delay_alu instid0(VALU_DEP_1) | instskip(SKIP_1) | instid1(VALU_DEP_2)
	v_mul_f32_e32 v47, 0x4f800000, v43
	v_cmp_gt_f32_e32 vcc_lo, 0xf800000, v43
	v_cndmask_b32_e32 v47, v43, v47, vcc_lo
	s_delay_alu instid0(VALU_DEP_1) | instskip(SKIP_1) | instid1(TRANS32_DEP_1)
	v_sqrt_f32_e32 v49, v47
	v_nop
	v_dual_add_nc_u32 v50, -1, v49 :: v_dual_add_nc_u32 v51, 1, v49
	s_delay_alu instid0(VALU_DEP_1) | instskip(NEXT) | instid1(VALU_DEP_1)
	v_dual_fma_f32 v52, -v50, v49, v47 :: v_dual_fma_f32 v53, -v51, v49, v47
	v_cmp_ge_f32_e64 s5, 0, v52
	s_delay_alu instid0(VALU_DEP_1) | instskip(NEXT) | instid1(VALU_DEP_3)
	v_cndmask_b32_e64 v49, v49, v50, s5
	v_cmp_lt_f32_e64 s5, 0, v53
	s_delay_alu instid0(VALU_DEP_1) | instskip(NEXT) | instid1(VALU_DEP_1)
	v_cndmask_b32_e64 v49, v49, v51, s5
	v_mul_f32_e32 v50, 0x37800000, v49
	s_delay_alu instid0(VALU_DEP_1) | instskip(SKIP_1) | instid1(VALU_DEP_2)
	v_cndmask_b32_e32 v49, v49, v50, vcc_lo
	v_cmp_class_f32_e64 vcc_lo, v47, 0x260
	v_cndmask_b32_e32 v49, v49, v47, vcc_lo
	v_cvt_f64_f32_e32 v[46:47], v46
	s_delay_alu instid0(VALU_DEP_2) | instskip(NEXT) | instid1(VALU_DEP_2)
	v_cvt_f64_f32_e32 v[50:51], v49
	v_mul_f64_e32 v[46:47], v[2:3], v[46:47]
	s_delay_alu instid0(VALU_DEP_2) | instskip(NEXT) | instid1(VALU_DEP_1)
	v_add_f64_e32 v[50:51], s[16:17], v[50:51]
	v_div_scale_f64 v[52:53], null, v[50:51], v[50:51], v[46:47]
	s_delay_alu instid0(VALU_DEP_1) | instskip(SKIP_1) | instid1(TRANS32_DEP_1)
	v_rcp_f64_e32 v[54:55], v[52:53]
	v_nop
	v_fma_f64 v[56:57], -v[52:53], v[54:55], 1.0
	s_delay_alu instid0(VALU_DEP_1) | instskip(NEXT) | instid1(VALU_DEP_1)
	v_fmac_f64_e32 v[54:55], v[54:55], v[56:57]
	v_fma_f64 v[56:57], -v[52:53], v[54:55], 1.0
	s_delay_alu instid0(VALU_DEP_1) | instskip(SKIP_1) | instid1(VALU_DEP_1)
	v_fmac_f64_e32 v[54:55], v[54:55], v[56:57]
	v_div_scale_f64 v[56:57], vcc_lo, v[46:47], v[50:51], v[46:47]
	v_mul_f64_e32 v[58:59], v[56:57], v[54:55]
	s_delay_alu instid0(VALU_DEP_1) | instskip(NEXT) | instid1(VALU_DEP_1)
	v_fma_f64 v[52:53], -v[52:53], v[58:59], v[56:57]
	v_div_fmas_f64 v[52:53], v[52:53], v[54:55], v[58:59]
	s_delay_alu instid0(VALU_DEP_1) | instskip(NEXT) | instid1(VALU_DEP_1)
	v_div_fixup_f64 v[46:47], v[52:53], v[50:51], v[46:47]
	v_add_f64_e64 v[44:45], v[44:45], -v[46:47]
	s_delay_alu instid0(VALU_DEP_1) | instskip(NEXT) | instid1(VALU_DEP_1)
	v_cvt_f32_f64_e32 v46, v[44:45]
	v_bfe_u32 v44, v46, 16, 1
	v_cmp_o_f32_e32 vcc_lo, v46, v46
	s_delay_alu instid0(VALU_DEP_2) | instskip(NEXT) | instid1(VALU_DEP_1)
	v_add3_u32 v44, v46, v44, 0x7fff
	v_lshrrev_b32_e32 v47, 16, v44
	v_add_nc_u64_e32 v[44:45], s[8:9], v[22:23]
	s_delay_alu instid0(VALU_DEP_2)
	v_cndmask_b32_e32 v46, 0x7fc0, v47, vcc_lo
	global_store_b16 v[44:45], v46, off
.LBB3_70:                               ;   in Loop: Header=BB3_32 Depth=1
	s_wait_xcnt 0x0
	s_or_b32 exec_lo, exec_lo, s6
	s_delay_alu instid0(SALU_CYCLE_1)
	s_and_not1_b32 vcc_lo, exec_lo, s22
	s_cbranch_vccnz .LBB3_77
; %bb.71:                               ;   in Loop: Header=BB3_32 Depth=1
	s_and_saveexec_b32 s5, s1
	s_cbranch_execnz .LBB3_87
; %bb.72:                               ;   in Loop: Header=BB3_32 Depth=1
	s_or_b32 exec_lo, exec_lo, s5
	s_and_saveexec_b32 s5, s2
	s_cbranch_execnz .LBB3_88
.LBB3_73:                               ;   in Loop: Header=BB3_32 Depth=1
	s_or_b32 exec_lo, exec_lo, s5
	s_and_saveexec_b32 s5, s3
	s_cbranch_execnz .LBB3_89
.LBB3_74:                               ;   in Loop: Header=BB3_32 Depth=1
	s_or_b32 exec_lo, exec_lo, s5
	s_and_saveexec_b32 s5, s4
	s_cbranch_execz .LBB3_76
.LBB3_75:                               ;   in Loop: Header=BB3_32 Depth=1
	v_add_nc_u64_e32 v[44:45], s[8:9], v[24:25]
	global_store_d16_hi_b16 v[44:45], v41, off
.LBB3_76:                               ;   in Loop: Header=BB3_32 Depth=1
	s_wait_xcnt 0x0
	s_or_b32 exec_lo, exec_lo, s5
.LBB3_77:                               ;   in Loop: Header=BB3_32 Depth=1
	s_and_saveexec_b32 s5, s1
	s_cbranch_execnz .LBB3_83
; %bb.78:                               ;   in Loop: Header=BB3_32 Depth=1
	s_or_b32 exec_lo, exec_lo, s5
	s_and_saveexec_b32 s1, s2
	s_cbranch_execnz .LBB3_84
.LBB3_79:                               ;   in Loop: Header=BB3_32 Depth=1
	s_or_b32 exec_lo, exec_lo, s1
	s_and_saveexec_b32 s1, s3
	s_cbranch_execnz .LBB3_85
.LBB3_80:                               ;   in Loop: Header=BB3_32 Depth=1
	s_or_b32 exec_lo, exec_lo, s1
	s_and_saveexec_b32 s1, s4
	s_cbranch_execz .LBB3_31
	s_branch .LBB3_86
.LBB3_81:                               ;   in Loop: Header=BB3_32 Depth=1
	v_add_nc_u64_e32 v[46:47], s[8:9], v[24:25]
	v_add_nc_u64_e32 v[48:49], s[8:9], v[22:23]
	global_load_u16 v7, v[46:47], off
	global_load_u16 v50, v[48:49], off
	s_wait_loadcnt 0x0
	s_wait_xcnt 0x1
	v_dual_lshlrev_b32 v7, 16, v7 :: v_dual_lshlrev_b32 v46, 16, v50
	s_delay_alu instid0(VALU_DEP_1) | instskip(NEXT) | instid1(VALU_DEP_2)
	v_add_nc_u64_e32 v[40:41], v[6:7], v[40:41]
	v_or_b32_e32 v45, v46, v45
	s_wait_xcnt 0x0
	s_or_b32 exec_lo, exec_lo, s5
	s_and_saveexec_b32 s5, s4
	s_cbranch_execz .LBB3_46
.LBB3_82:                               ;   in Loop: Header=BB3_32 Depth=1
	v_add_nc_u64_e32 v[46:47], s[8:9], v[26:27]
	global_load_u16 v7, v[46:47], off
	s_wait_loadcnt 0x0
	v_lshlrev_b32_e32 v7, 16, v7
	s_delay_alu instid0(VALU_DEP_1)
	v_or_b32_e32 v43, v7, v43
	s_wait_xcnt 0x0
	s_or_b32 exec_lo, exec_lo, s5
	v_lshlrev_b32_e32 v7, 16, v40
	s_and_not1_b32 vcc_lo, exec_lo, s22
	s_cbranch_vccz .LBB3_47
	s_branch .LBB3_48
.LBB3_83:                               ;   in Loop: Header=BB3_32 Depth=1
	v_bfe_u32 v40, v7, 16, 1
	v_cmp_o_f32_e32 vcc_lo, v7, v7
	s_delay_alu instid0(VALU_DEP_2) | instskip(NEXT) | instid1(VALU_DEP_1)
	v_add3_u32 v40, v7, v40, 0x7fff
	v_lshrrev_b32_e32 v44, 16, v40
	v_add_nc_u64_e32 v[40:41], s[8:9], v[14:15]
	s_delay_alu instid0(VALU_DEP_2)
	v_cndmask_b32_e32 v7, 0x7fc0, v44, vcc_lo
	global_store_b16 v[40:41], v7, off
	s_wait_xcnt 0x0
	s_or_b32 exec_lo, exec_lo, s5
	s_and_saveexec_b32 s1, s2
	s_cbranch_execz .LBB3_79
.LBB3_84:                               ;   in Loop: Header=BB3_32 Depth=1
	v_bfe_u32 v7, v48, 16, 1
	v_cmp_o_f32_e32 vcc_lo, v48, v48
	v_add_nc_u64_e32 v[40:41], s[8:9], v[38:39]
	s_delay_alu instid0(VALU_DEP_3) | instskip(NEXT) | instid1(VALU_DEP_1)
	v_add3_u32 v7, v48, v7, 0x7fff
	v_lshrrev_b32_e32 v7, 16, v7
	s_delay_alu instid0(VALU_DEP_1)
	v_cndmask_b32_e32 v7, 0x7fc0, v7, vcc_lo
	global_store_b16 v[40:41], v7, off
	s_wait_xcnt 0x0
	s_or_b32 exec_lo, exec_lo, s1
	s_and_saveexec_b32 s1, s3
	s_cbranch_execz .LBB3_80
.LBB3_85:                               ;   in Loop: Header=BB3_32 Depth=1
	v_bfe_u32 v7, v42, 16, 1
	v_cmp_o_f32_e32 vcc_lo, v42, v42
	v_add_nc_u64_e32 v[40:41], s[8:9], v[32:33]
	s_delay_alu instid0(VALU_DEP_3) | instskip(NEXT) | instid1(VALU_DEP_1)
	v_add3_u32 v7, v42, v7, 0x7fff
	v_lshrrev_b32_e32 v7, 16, v7
	s_delay_alu instid0(VALU_DEP_1)
	v_cndmask_b32_e32 v7, 0x7fc0, v7, vcc_lo
	global_store_b16 v[40:41], v7, off
	s_wait_xcnt 0x0
	s_or_b32 exec_lo, exec_lo, s1
	s_and_saveexec_b32 s1, s4
	s_cbranch_execz .LBB3_31
.LBB3_86:                               ;   in Loop: Header=BB3_32 Depth=1
	v_bfe_u32 v7, v43, 16, 1
	v_cmp_o_f32_e32 vcc_lo, v43, v43
	v_add_nc_u64_e32 v[40:41], s[8:9], v[26:27]
	s_delay_alu instid0(VALU_DEP_3) | instskip(NEXT) | instid1(VALU_DEP_1)
	v_add3_u32 v7, v43, v7, 0x7fff
	v_lshrrev_b32_e32 v7, 16, v7
	s_delay_alu instid0(VALU_DEP_1)
	v_cndmask_b32_e32 v7, 0x7fc0, v7, vcc_lo
	global_store_b16 v[40:41], v7, off
	s_branch .LBB3_31
.LBB3_87:                               ;   in Loop: Header=BB3_32 Depth=1
	v_add_nc_u64_e32 v[44:45], s[8:9], v[12:13]
	global_store_b16 v[44:45], v40, off
	s_wait_xcnt 0x0
	s_or_b32 exec_lo, exec_lo, s5
	s_and_saveexec_b32 s5, s2
	s_cbranch_execz .LBB3_73
.LBB3_88:                               ;   in Loop: Header=BB3_32 Depth=1
	v_add_nc_u64_e32 v[44:45], s[8:9], v[36:37]
	global_store_d16_hi_b16 v[44:45], v40, off
	s_wait_xcnt 0x0
	s_or_b32 exec_lo, exec_lo, s5
	s_and_saveexec_b32 s5, s3
	s_cbranch_execz .LBB3_74
.LBB3_89:                               ;   in Loop: Header=BB3_32 Depth=1
	v_add_nc_u64_e32 v[44:45], s[8:9], v[30:31]
	global_store_b16 v[44:45], v41, off
	s_wait_xcnt 0x0
	s_or_b32 exec_lo, exec_lo, s5
	s_and_saveexec_b32 s5, s4
	s_cbranch_execnz .LBB3_75
	s_branch .LBB3_76
.LBB3_90:
	s_endpgm
	.section	.rodata,"a",@progbits
	.p2align	6, 0x0
	.amdhsa_kernel _ZN2at6native12_GLOBAL__N_125multi_tensor_apply_kernelINS1_32FusedOptimizerTensorListMetadataILi3EEENS1_23FusedAdagradMathFunctorIN3c108BFloat16EEEJPKfddddbSA_SA_EEEvT_T0_DpT1_
		.amdhsa_group_segment_fixed_size 0
		.amdhsa_private_segment_fixed_size 0
		.amdhsa_kernarg_size 3856
		.amdhsa_user_sgpr_count 2
		.amdhsa_user_sgpr_dispatch_ptr 0
		.amdhsa_user_sgpr_queue_ptr 0
		.amdhsa_user_sgpr_kernarg_segment_ptr 1
		.amdhsa_user_sgpr_dispatch_id 0
		.amdhsa_user_sgpr_kernarg_preload_length 0
		.amdhsa_user_sgpr_kernarg_preload_offset 0
		.amdhsa_user_sgpr_private_segment_size 0
		.amdhsa_wavefront_size32 1
		.amdhsa_uses_dynamic_stack 0
		.amdhsa_enable_private_segment 0
		.amdhsa_system_sgpr_workgroup_id_x 1
		.amdhsa_system_sgpr_workgroup_id_y 0
		.amdhsa_system_sgpr_workgroup_id_z 0
		.amdhsa_system_sgpr_workgroup_info 0
		.amdhsa_system_vgpr_workitem_id 0
		.amdhsa_next_free_vgpr 64
		.amdhsa_next_free_sgpr 28
		.amdhsa_named_barrier_count 0
		.amdhsa_reserve_vcc 1
		.amdhsa_float_round_mode_32 0
		.amdhsa_float_round_mode_16_64 0
		.amdhsa_float_denorm_mode_32 3
		.amdhsa_float_denorm_mode_16_64 3
		.amdhsa_fp16_overflow 0
		.amdhsa_memory_ordered 1
		.amdhsa_forward_progress 1
		.amdhsa_inst_pref_size 57
		.amdhsa_round_robin_scheduling 0
		.amdhsa_exception_fp_ieee_invalid_op 0
		.amdhsa_exception_fp_denorm_src 0
		.amdhsa_exception_fp_ieee_div_zero 0
		.amdhsa_exception_fp_ieee_overflow 0
		.amdhsa_exception_fp_ieee_underflow 0
		.amdhsa_exception_fp_ieee_inexact 0
		.amdhsa_exception_int_div_zero 0
	.end_amdhsa_kernel
	.section	.text._ZN2at6native12_GLOBAL__N_125multi_tensor_apply_kernelINS1_32FusedOptimizerTensorListMetadataILi3EEENS1_23FusedAdagradMathFunctorIN3c108BFloat16EEEJPKfddddbSA_SA_EEEvT_T0_DpT1_,"axG",@progbits,_ZN2at6native12_GLOBAL__N_125multi_tensor_apply_kernelINS1_32FusedOptimizerTensorListMetadataILi3EEENS1_23FusedAdagradMathFunctorIN3c108BFloat16EEEJPKfddddbSA_SA_EEEvT_T0_DpT1_,comdat
.Lfunc_end3:
	.size	_ZN2at6native12_GLOBAL__N_125multi_tensor_apply_kernelINS1_32FusedOptimizerTensorListMetadataILi3EEENS1_23FusedAdagradMathFunctorIN3c108BFloat16EEEJPKfddddbSA_SA_EEEvT_T0_DpT1_, .Lfunc_end3-_ZN2at6native12_GLOBAL__N_125multi_tensor_apply_kernelINS1_32FusedOptimizerTensorListMetadataILi3EEENS1_23FusedAdagradMathFunctorIN3c108BFloat16EEEJPKfddddbSA_SA_EEEvT_T0_DpT1_
                                        ; -- End function
	.set _ZN2at6native12_GLOBAL__N_125multi_tensor_apply_kernelINS1_32FusedOptimizerTensorListMetadataILi3EEENS1_23FusedAdagradMathFunctorIN3c108BFloat16EEEJPKfddddbSA_SA_EEEvT_T0_DpT1_.num_vgpr, 64
	.set _ZN2at6native12_GLOBAL__N_125multi_tensor_apply_kernelINS1_32FusedOptimizerTensorListMetadataILi3EEENS1_23FusedAdagradMathFunctorIN3c108BFloat16EEEJPKfddddbSA_SA_EEEvT_T0_DpT1_.num_agpr, 0
	.set _ZN2at6native12_GLOBAL__N_125multi_tensor_apply_kernelINS1_32FusedOptimizerTensorListMetadataILi3EEENS1_23FusedAdagradMathFunctorIN3c108BFloat16EEEJPKfddddbSA_SA_EEEvT_T0_DpT1_.numbered_sgpr, 28
	.set _ZN2at6native12_GLOBAL__N_125multi_tensor_apply_kernelINS1_32FusedOptimizerTensorListMetadataILi3EEENS1_23FusedAdagradMathFunctorIN3c108BFloat16EEEJPKfddddbSA_SA_EEEvT_T0_DpT1_.num_named_barrier, 0
	.set _ZN2at6native12_GLOBAL__N_125multi_tensor_apply_kernelINS1_32FusedOptimizerTensorListMetadataILi3EEENS1_23FusedAdagradMathFunctorIN3c108BFloat16EEEJPKfddddbSA_SA_EEEvT_T0_DpT1_.private_seg_size, 0
	.set _ZN2at6native12_GLOBAL__N_125multi_tensor_apply_kernelINS1_32FusedOptimizerTensorListMetadataILi3EEENS1_23FusedAdagradMathFunctorIN3c108BFloat16EEEJPKfddddbSA_SA_EEEvT_T0_DpT1_.uses_vcc, 1
	.set _ZN2at6native12_GLOBAL__N_125multi_tensor_apply_kernelINS1_32FusedOptimizerTensorListMetadataILi3EEENS1_23FusedAdagradMathFunctorIN3c108BFloat16EEEJPKfddddbSA_SA_EEEvT_T0_DpT1_.uses_flat_scratch, 0
	.set _ZN2at6native12_GLOBAL__N_125multi_tensor_apply_kernelINS1_32FusedOptimizerTensorListMetadataILi3EEENS1_23FusedAdagradMathFunctorIN3c108BFloat16EEEJPKfddddbSA_SA_EEEvT_T0_DpT1_.has_dyn_sized_stack, 0
	.set _ZN2at6native12_GLOBAL__N_125multi_tensor_apply_kernelINS1_32FusedOptimizerTensorListMetadataILi3EEENS1_23FusedAdagradMathFunctorIN3c108BFloat16EEEJPKfddddbSA_SA_EEEvT_T0_DpT1_.has_recursion, 0
	.set _ZN2at6native12_GLOBAL__N_125multi_tensor_apply_kernelINS1_32FusedOptimizerTensorListMetadataILi3EEENS1_23FusedAdagradMathFunctorIN3c108BFloat16EEEJPKfddddbSA_SA_EEEvT_T0_DpT1_.has_indirect_call, 0
	.section	.AMDGPU.csdata,"",@progbits
; Kernel info:
; codeLenInByte = 7184
; TotalNumSgprs: 30
; NumVgprs: 64
; ScratchSize: 0
; MemoryBound: 0
; FloatMode: 240
; IeeeMode: 1
; LDSByteSize: 0 bytes/workgroup (compile time only)
; SGPRBlocks: 0
; VGPRBlocks: 3
; NumSGPRsForWavesPerEU: 30
; NumVGPRsForWavesPerEU: 64
; NamedBarCnt: 0
; Occupancy: 16
; WaveLimiterHint : 0
; COMPUTE_PGM_RSRC2:SCRATCH_EN: 0
; COMPUTE_PGM_RSRC2:USER_SGPR: 2
; COMPUTE_PGM_RSRC2:TRAP_HANDLER: 0
; COMPUTE_PGM_RSRC2:TGID_X_EN: 1
; COMPUTE_PGM_RSRC2:TGID_Y_EN: 0
; COMPUTE_PGM_RSRC2:TGID_Z_EN: 0
; COMPUTE_PGM_RSRC2:TIDIG_COMP_CNT: 0
	.section	.AMDGPU.gpr_maximums,"",@progbits
	.set amdgpu.max_num_vgpr, 0
	.set amdgpu.max_num_agpr, 0
	.set amdgpu.max_num_sgpr, 0
	.section	.AMDGPU.csdata,"",@progbits
	.type	__hip_cuid_3ff5f1dd3fdc86bc,@object ; @__hip_cuid_3ff5f1dd3fdc86bc
	.section	.bss,"aw",@nobits
	.globl	__hip_cuid_3ff5f1dd3fdc86bc
__hip_cuid_3ff5f1dd3fdc86bc:
	.byte	0                               ; 0x0
	.size	__hip_cuid_3ff5f1dd3fdc86bc, 1

	.ident	"AMD clang version 22.0.0git (https://github.com/RadeonOpenCompute/llvm-project roc-7.2.4 26084 f58b06dce1f9c15707c5f808fd002e18c2accf7e)"
	.section	".note.GNU-stack","",@progbits
	.addrsig
	.addrsig_sym __hip_cuid_3ff5f1dd3fdc86bc
	.amdgpu_metadata
---
amdhsa.kernels:
  - .args:
      - .offset:         0
        .size:           3528
        .value_kind:     by_value
      - .offset:         3528
        .size:           1
        .value_kind:     by_value
      - .address_space:  global
        .offset:         3536
        .size:           8
        .value_kind:     global_buffer
      - .offset:         3544
        .size:           8
        .value_kind:     by_value
      - .offset:         3552
        .size:           8
        .value_kind:     by_value
      - .offset:         3560
        .size:           8
        .value_kind:     by_value
      - .offset:         3568
        .size:           8
        .value_kind:     by_value
      - .offset:         3576
        .size:           1
        .value_kind:     by_value
      - .address_space:  global
        .offset:         3584
        .size:           8
        .value_kind:     global_buffer
      - .address_space:  global
        .offset:         3592
        .size:           8
        .value_kind:     global_buffer
      - .offset:         3600
        .size:           4
        .value_kind:     hidden_block_count_x
      - .offset:         3604
        .size:           4
        .value_kind:     hidden_block_count_y
      - .offset:         3608
        .size:           4
        .value_kind:     hidden_block_count_z
      - .offset:         3612
        .size:           2
        .value_kind:     hidden_group_size_x
      - .offset:         3614
        .size:           2
        .value_kind:     hidden_group_size_y
      - .offset:         3616
        .size:           2
        .value_kind:     hidden_group_size_z
      - .offset:         3618
        .size:           2
        .value_kind:     hidden_remainder_x
      - .offset:         3620
        .size:           2
        .value_kind:     hidden_remainder_y
      - .offset:         3622
        .size:           2
        .value_kind:     hidden_remainder_z
      - .offset:         3640
        .size:           8
        .value_kind:     hidden_global_offset_x
      - .offset:         3648
        .size:           8
        .value_kind:     hidden_global_offset_y
      - .offset:         3656
        .size:           8
        .value_kind:     hidden_global_offset_z
      - .offset:         3664
        .size:           2
        .value_kind:     hidden_grid_dims
    .group_segment_fixed_size: 0
    .kernarg_segment_align: 8
    .kernarg_segment_size: 3856
    .language:       OpenCL C
    .language_version:
      - 2
      - 0
    .max_flat_workgroup_size: 512
    .name:           _ZN2at6native12_GLOBAL__N_125multi_tensor_apply_kernelINS1_32FusedOptimizerTensorListMetadataILi3EEENS1_23FusedAdagradMathFunctorIdEEJPKfddddbS8_S8_EEEvT_T0_DpT1_
    .private_segment_fixed_size: 0
    .sgpr_count:     39
    .sgpr_spill_count: 0
    .symbol:         _ZN2at6native12_GLOBAL__N_125multi_tensor_apply_kernelINS1_32FusedOptimizerTensorListMetadataILi3EEENS1_23FusedAdagradMathFunctorIdEEJPKfddddbS8_S8_EEEvT_T0_DpT1_.kd
    .uniform_work_group_size: 1
    .uses_dynamic_stack: false
    .vgpr_count:     86
    .vgpr_spill_count: 0
    .wavefront_size: 32
  - .args:
      - .offset:         0
        .size:           3528
        .value_kind:     by_value
      - .offset:         3528
        .size:           1
        .value_kind:     by_value
      - .address_space:  global
        .offset:         3536
        .size:           8
        .value_kind:     global_buffer
      - .offset:         3544
        .size:           8
        .value_kind:     by_value
      - .offset:         3552
        .size:           8
        .value_kind:     by_value
      - .offset:         3560
        .size:           8
        .value_kind:     by_value
      - .offset:         3568
        .size:           8
        .value_kind:     by_value
      - .offset:         3576
        .size:           1
        .value_kind:     by_value
      - .address_space:  global
        .offset:         3584
        .size:           8
        .value_kind:     global_buffer
      - .address_space:  global
        .offset:         3592
        .size:           8
        .value_kind:     global_buffer
      - .offset:         3600
        .size:           4
        .value_kind:     hidden_block_count_x
      - .offset:         3604
        .size:           4
        .value_kind:     hidden_block_count_y
      - .offset:         3608
        .size:           4
        .value_kind:     hidden_block_count_z
      - .offset:         3612
        .size:           2
        .value_kind:     hidden_group_size_x
      - .offset:         3614
        .size:           2
        .value_kind:     hidden_group_size_y
      - .offset:         3616
        .size:           2
        .value_kind:     hidden_group_size_z
      - .offset:         3618
        .size:           2
        .value_kind:     hidden_remainder_x
      - .offset:         3620
        .size:           2
        .value_kind:     hidden_remainder_y
      - .offset:         3622
        .size:           2
        .value_kind:     hidden_remainder_z
      - .offset:         3640
        .size:           8
        .value_kind:     hidden_global_offset_x
      - .offset:         3648
        .size:           8
        .value_kind:     hidden_global_offset_y
      - .offset:         3656
        .size:           8
        .value_kind:     hidden_global_offset_z
      - .offset:         3664
        .size:           2
        .value_kind:     hidden_grid_dims
    .group_segment_fixed_size: 0
    .kernarg_segment_align: 8
    .kernarg_segment_size: 3856
    .language:       OpenCL C
    .language_version:
      - 2
      - 0
    .max_flat_workgroup_size: 512
    .name:           _ZN2at6native12_GLOBAL__N_125multi_tensor_apply_kernelINS1_32FusedOptimizerTensorListMetadataILi3EEENS1_23FusedAdagradMathFunctorIfEEJPKfddddbS8_S8_EEEvT_T0_DpT1_
    .private_segment_fixed_size: 0
    .sgpr_count:     37
    .sgpr_spill_count: 0
    .symbol:         _ZN2at6native12_GLOBAL__N_125multi_tensor_apply_kernelINS1_32FusedOptimizerTensorListMetadataILi3EEENS1_23FusedAdagradMathFunctorIfEEJPKfddddbS8_S8_EEEvT_T0_DpT1_.kd
    .uniform_work_group_size: 1
    .uses_dynamic_stack: false
    .vgpr_count:     66
    .vgpr_spill_count: 0
    .wavefront_size: 32
  - .args:
      - .offset:         0
        .size:           3528
        .value_kind:     by_value
      - .offset:         3528
        .size:           1
        .value_kind:     by_value
      - .address_space:  global
        .offset:         3536
        .size:           8
        .value_kind:     global_buffer
      - .offset:         3544
        .size:           8
        .value_kind:     by_value
      - .offset:         3552
        .size:           8
        .value_kind:     by_value
      - .offset:         3560
        .size:           8
        .value_kind:     by_value
      - .offset:         3568
        .size:           8
        .value_kind:     by_value
      - .offset:         3576
        .size:           1
        .value_kind:     by_value
      - .address_space:  global
        .offset:         3584
        .size:           8
        .value_kind:     global_buffer
      - .address_space:  global
        .offset:         3592
        .size:           8
        .value_kind:     global_buffer
      - .offset:         3600
        .size:           4
        .value_kind:     hidden_block_count_x
      - .offset:         3604
        .size:           4
        .value_kind:     hidden_block_count_y
      - .offset:         3608
        .size:           4
        .value_kind:     hidden_block_count_z
      - .offset:         3612
        .size:           2
        .value_kind:     hidden_group_size_x
      - .offset:         3614
        .size:           2
        .value_kind:     hidden_group_size_y
      - .offset:         3616
        .size:           2
        .value_kind:     hidden_group_size_z
      - .offset:         3618
        .size:           2
        .value_kind:     hidden_remainder_x
      - .offset:         3620
        .size:           2
        .value_kind:     hidden_remainder_y
      - .offset:         3622
        .size:           2
        .value_kind:     hidden_remainder_z
      - .offset:         3640
        .size:           8
        .value_kind:     hidden_global_offset_x
      - .offset:         3648
        .size:           8
        .value_kind:     hidden_global_offset_y
      - .offset:         3656
        .size:           8
        .value_kind:     hidden_global_offset_z
      - .offset:         3664
        .size:           2
        .value_kind:     hidden_grid_dims
    .group_segment_fixed_size: 0
    .kernarg_segment_align: 8
    .kernarg_segment_size: 3856
    .language:       OpenCL C
    .language_version:
      - 2
      - 0
    .max_flat_workgroup_size: 512
    .name:           _ZN2at6native12_GLOBAL__N_125multi_tensor_apply_kernelINS1_32FusedOptimizerTensorListMetadataILi3EEENS1_23FusedAdagradMathFunctorIN3c104HalfEEEJPKfddddbSA_SA_EEEvT_T0_DpT1_
    .private_segment_fixed_size: 0
    .sgpr_count:     37
    .sgpr_spill_count: 0
    .symbol:         _ZN2at6native12_GLOBAL__N_125multi_tensor_apply_kernelINS1_32FusedOptimizerTensorListMetadataILi3EEENS1_23FusedAdagradMathFunctorIN3c104HalfEEEJPKfddddbSA_SA_EEEvT_T0_DpT1_.kd
    .uniform_work_group_size: 1
    .uses_dynamic_stack: false
    .vgpr_count:     68
    .vgpr_spill_count: 0
    .wavefront_size: 32
  - .args:
      - .offset:         0
        .size:           3528
        .value_kind:     by_value
      - .offset:         3528
        .size:           1
        .value_kind:     by_value
      - .address_space:  global
        .offset:         3536
        .size:           8
        .value_kind:     global_buffer
      - .offset:         3544
        .size:           8
        .value_kind:     by_value
      - .offset:         3552
        .size:           8
        .value_kind:     by_value
      - .offset:         3560
        .size:           8
        .value_kind:     by_value
      - .offset:         3568
        .size:           8
        .value_kind:     by_value
      - .offset:         3576
        .size:           1
        .value_kind:     by_value
      - .address_space:  global
        .offset:         3584
        .size:           8
        .value_kind:     global_buffer
      - .address_space:  global
        .offset:         3592
        .size:           8
        .value_kind:     global_buffer
      - .offset:         3600
        .size:           4
        .value_kind:     hidden_block_count_x
      - .offset:         3604
        .size:           4
        .value_kind:     hidden_block_count_y
      - .offset:         3608
        .size:           4
        .value_kind:     hidden_block_count_z
      - .offset:         3612
        .size:           2
        .value_kind:     hidden_group_size_x
      - .offset:         3614
        .size:           2
        .value_kind:     hidden_group_size_y
      - .offset:         3616
        .size:           2
        .value_kind:     hidden_group_size_z
      - .offset:         3618
        .size:           2
        .value_kind:     hidden_remainder_x
      - .offset:         3620
        .size:           2
        .value_kind:     hidden_remainder_y
      - .offset:         3622
        .size:           2
        .value_kind:     hidden_remainder_z
      - .offset:         3640
        .size:           8
        .value_kind:     hidden_global_offset_x
      - .offset:         3648
        .size:           8
        .value_kind:     hidden_global_offset_y
      - .offset:         3656
        .size:           8
        .value_kind:     hidden_global_offset_z
      - .offset:         3664
        .size:           2
        .value_kind:     hidden_grid_dims
    .group_segment_fixed_size: 0
    .kernarg_segment_align: 8
    .kernarg_segment_size: 3856
    .language:       OpenCL C
    .language_version:
      - 2
      - 0
    .max_flat_workgroup_size: 512
    .name:           _ZN2at6native12_GLOBAL__N_125multi_tensor_apply_kernelINS1_32FusedOptimizerTensorListMetadataILi3EEENS1_23FusedAdagradMathFunctorIN3c108BFloat16EEEJPKfddddbSA_SA_EEEvT_T0_DpT1_
    .private_segment_fixed_size: 0
    .sgpr_count:     30
    .sgpr_spill_count: 0
    .symbol:         _ZN2at6native12_GLOBAL__N_125multi_tensor_apply_kernelINS1_32FusedOptimizerTensorListMetadataILi3EEENS1_23FusedAdagradMathFunctorIN3c108BFloat16EEEJPKfddddbSA_SA_EEEvT_T0_DpT1_.kd
    .uniform_work_group_size: 1
    .uses_dynamic_stack: false
    .vgpr_count:     64
    .vgpr_spill_count: 0
    .wavefront_size: 32
amdhsa.target:   amdgcn-amd-amdhsa--gfx1250
amdhsa.version:
  - 1
  - 2
...

	.end_amdgpu_metadata
